;; amdgpu-corpus repo=ROCm/rocFFT kind=compiled arch=gfx950 opt=O3
	.text
	.amdgcn_target "amdgcn-amd-amdhsa--gfx950"
	.amdhsa_code_object_version 6
	.protected	bluestein_single_back_len80_dim1_half_op_CI_CI ; -- Begin function bluestein_single_back_len80_dim1_half_op_CI_CI
	.globl	bluestein_single_back_len80_dim1_half_op_CI_CI
	.p2align	8
	.type	bluestein_single_back_len80_dim1_half_op_CI_CI,@function
bluestein_single_back_len80_dim1_half_op_CI_CI: ; @bluestein_single_back_len80_dim1_half_op_CI_CI
; %bb.0:
	s_load_dwordx4 s[12:15], s[0:1], 0x28
	v_mul_u32_u24_e32 v1, 0x199a, v0
	v_lshrrev_b32_e32 v2, 16, v1
	v_mad_u64_u32 v[12:13], s[2:3], s2, 6, v[2:3]
	v_mov_b32_e32 v11, 0
	v_mov_b32_e32 v13, v11
	s_waitcnt lgkmcnt(0)
	v_cmp_gt_u64_e32 vcc, s[12:13], v[12:13]
	s_and_saveexec_b64 s[2:3], vcc
	s_cbranch_execz .LBB0_15
; %bb.1:
	s_load_dwordx4 s[8:11], s[0:1], 0x18
	s_load_dwordx2 s[12:13], s[0:1], 0x0
	v_mul_lo_u16_e32 v1, 10, v2
	v_sub_u16_e32 v10, v0, v1
	v_mov_b32_e32 v4, s14
	s_waitcnt lgkmcnt(0)
	s_load_dwordx4 s[4:7], s[8:9], 0x0
	v_mov_b32_e32 v5, s15
	v_or_b32_e32 v28, 16, v10
	v_or_b32_e32 v26, 32, v10
	;; [unrolled: 1-line block ×3, first 2 shown]
	s_waitcnt lgkmcnt(0)
	v_mad_u64_u32 v[0:1], s[2:3], s6, v12, 0
	v_mov_b32_e32 v2, v1
	v_mad_u64_u32 v[2:3], s[2:3], s7, v12, v[2:3]
	v_mad_u64_u32 v[6:7], s[2:3], s4, v10, 0
	v_mov_b32_e32 v1, v2
	v_mov_b32_e32 v2, v7
	v_mad_u64_u32 v[2:3], s[2:3], s5, v10, v[2:3]
	v_mov_b32_e32 v7, v2
	v_lshl_add_u64 v[2:3], v[0:1], 2, v[4:5]
	v_lshl_add_u64 v[0:1], v[6:7], 2, v[2:3]
	v_lshlrev_b32_e32 v4, 2, v10
	global_load_dword v30, v4, s[12:13]
	global_load_dword v29, v4, s[12:13] offset:64
	global_load_dword v27, v4, s[12:13] offset:128
	global_load_dword v17, v[0:1], off
	v_mad_u64_u32 v[6:7], s[2:3], s4, v28, 0
	v_mov_b32_e32 v8, v7
	v_mad_u64_u32 v[8:9], s[2:3], s5, v28, v[8:9]
	v_mov_b32_e32 v7, v8
	;; [unrolled: 2-line block ×4, first 2 shown]
	v_mad_u64_u32 v[14:15], s[2:3], s4, v24, 0
	v_lshl_add_u64 v[8:9], v[8:9], 2, v[2:3]
	global_load_dword v18, v[8:9], off
	v_mov_b32_e32 v16, v15
	v_lshl_add_u64 v[6:7], v[6:7], 2, v[2:3]
	v_or_b32_e32 v22, 64, v10
	s_mov_b32 s6, 0xaaaaaaab
	v_mov_b32_e32 v5, v11
	v_lshl_add_u64 v[8:9], s[12:13], 0, v[4:5]
	v_cmp_gt_u16_e32 vcc, 6, v10
	s_waitcnt vmcnt(1)
	v_mad_u64_u32 v[0:1], s[2:3], s5, v24, v[16:17]
	v_mov_b32_e32 v15, v0
	v_lshl_add_u64 v[0:1], v[14:15], 2, v[2:3]
	global_load_dword v16, v[6:7], off
	global_load_dword v14, v[0:1], off
	global_load_dword v25, v4, s[12:13] offset:192
	v_mad_u64_u32 v[0:1], s[2:3], s4, v22, 0
	v_mov_b32_e32 v6, v1
	v_mad_u64_u32 v[6:7], s[2:3], s5, v22, v[6:7]
	v_mov_b32_e32 v1, v6
	v_lshl_add_u64 v[0:1], v[0:1], 2, v[2:3]
	global_load_dword v6, v[0:1], off
	global_load_dword v23, v4, s[12:13] offset:256
	v_mul_hi_u32 v0, v12, s6
	v_lshrrev_b32_e32 v0, 2, v0
	v_mul_lo_u32 v0, v0, 6
	v_sub_u32_e32 v0, v12, v0
	v_mul_u32_u24_e32 v32, 0x50, v0
	v_or_b32_e32 v0, v32, v10
	v_lshl_add_u32 v13, v32, 2, v4
	v_lshlrev_b32_e32 v31, 2, v0
	v_lshrrev_b32_e32 v0, 16, v17
	v_mul_f16_sdwa v1, v30, v17 dst_sel:DWORD dst_unused:UNUSED_PAD src0_sel:WORD_1 src1_sel:DWORD
	s_waitcnt vmcnt(5)
	v_lshrrev_b32_e32 v7, 16, v18
	v_mul_f16_sdwa v21, v30, v0 dst_sel:DWORD dst_unused:UNUSED_PAD src0_sel:WORD_1 src1_sel:DWORD
	v_fma_f16 v0, v30, v0, -v1
	v_mul_f16_sdwa v15, v27, v18 dst_sel:DWORD dst_unused:UNUSED_PAD src0_sel:WORD_1 src1_sel:DWORD
	v_fma_f16 v17, v30, v17, v21
	v_pack_b32_f16 v0, v17, v0
	s_load_dwordx2 s[2:3], s[0:1], 0x38
	s_waitcnt vmcnt(4)
	v_lshrrev_b32_e32 v4, 16, v16
	v_mul_f16_sdwa v5, v29, v16 dst_sel:DWORD dst_unused:UNUSED_PAD src0_sel:WORD_1 src1_sel:DWORD
	v_mul_f16_sdwa v1, v29, v4 dst_sel:DWORD dst_unused:UNUSED_PAD src0_sel:WORD_1 src1_sel:DWORD
	v_fma_f16 v4, v29, v4, -v5
	v_mul_f16_sdwa v5, v27, v7 dst_sel:DWORD dst_unused:UNUSED_PAD src0_sel:WORD_1 src1_sel:DWORD
	v_fma_f16 v1, v29, v16, v1
	v_fma_f16 v7, v27, v7, -v15
	v_fma_f16 v5, v27, v18, v5
	v_pack_b32_f16 v1, v1, v4
	s_load_dwordx4 s[8:11], s[10:11], 0x0
	s_waitcnt vmcnt(3)
	v_lshrrev_b32_e32 v19, 16, v14
	v_pack_b32_f16 v4, v5, v7
	ds_write_b32 v31, v0
	ds_write2_b32 v13, v1, v4 offset0:16 offset1:32
	s_waitcnt vmcnt(1)
	v_lshrrev_b32_e32 v1, 16, v6
	v_mul_f16_sdwa v20, v25, v14 dst_sel:DWORD dst_unused:UNUSED_PAD src0_sel:WORD_1 src1_sel:DWORD
	v_mul_f16_sdwa v15, v25, v19 dst_sel:DWORD dst_unused:UNUSED_PAD src0_sel:WORD_1 src1_sel:DWORD
	s_waitcnt vmcnt(0)
	v_mul_f16_sdwa v4, v23, v1 dst_sel:DWORD dst_unused:UNUSED_PAD src0_sel:WORD_1 src1_sel:DWORD
	v_mul_f16_sdwa v5, v23, v6 dst_sel:DWORD dst_unused:UNUSED_PAD src0_sel:WORD_1 src1_sel:DWORD
	v_fma_f16 v14, v25, v14, v15
	v_fma_f16 v0, v25, v19, -v20
	v_fma_f16 v4, v23, v6, v4
	v_fma_f16 v1, v23, v1, -v5
	v_pack_b32_f16 v0, v14, v0
	v_pack_b32_f16 v1, v4, v1
	ds_write2_b32 v13, v0, v1 offset0:48 offset1:64
	v_lshl_add_u64 v[0:1], v[10:11], 0, 10
	s_and_saveexec_b64 s[6:7], vcc
	s_cbranch_execz .LBB0_3
; %bb.2:
	v_mad_u64_u32 v[4:5], s[14:15], s4, v0, 0
	v_mov_b32_e32 v6, v5
	v_mad_u64_u32 v[6:7], s[14:15], s5, v0, v[6:7]
	v_mov_b32_e32 v5, v6
	v_lshl_add_u64 v[2:3], v[4:5], 2, v[2:3]
	global_load_dword v1, v[2:3], off
	global_load_dword v4, v[8:9], off offset:40
	s_lshl_b64 s[4:5], s[4:5], 6
	v_lshl_add_u64 v[2:3], v[2:3], 0, s[4:5]
	global_load_dword v5, v[2:3], off
	global_load_dword v6, v[8:9], off offset:104
	v_lshl_add_u64 v[2:3], v[2:3], 0, s[4:5]
	global_load_dword v7, v[2:3], off
	global_load_dword v14, v[8:9], off offset:168
	;; [unrolled: 3-line block ×4, first 2 shown]
	s_waitcnt vmcnt(9)
	v_lshrrev_b32_e32 v2, 16, v1
	s_waitcnt vmcnt(8)
	v_mul_f16_sdwa v3, v4, v1 dst_sel:DWORD dst_unused:UNUSED_PAD src0_sel:WORD_1 src1_sel:DWORD
	v_mul_f16_sdwa v19, v4, v2 dst_sel:DWORD dst_unused:UNUSED_PAD src0_sel:WORD_1 src1_sel:DWORD
	v_fma_f16 v2, v4, v2, -v3
	s_waitcnt vmcnt(7)
	v_lshrrev_b32_e32 v3, 16, v5
	s_waitcnt vmcnt(6)
	v_mul_f16_sdwa v20, v6, v5 dst_sel:DWORD dst_unused:UNUSED_PAD src0_sel:WORD_1 src1_sel:DWORD
	v_fma_f16 v1, v4, v1, v19
	v_mul_f16_sdwa v4, v6, v3 dst_sel:DWORD dst_unused:UNUSED_PAD src0_sel:WORD_1 src1_sel:DWORD
	s_waitcnt vmcnt(5)
	v_lshrrev_b32_e32 v19, 16, v7
	v_fma_f16 v3, v6, v3, -v20
	s_waitcnt vmcnt(4)
	v_mul_f16_sdwa v20, v14, v7 dst_sel:DWORD dst_unused:UNUSED_PAD src0_sel:WORD_1 src1_sel:DWORD
	v_pack_b32_f16 v1, v1, v2
	v_fma_f16 v2, v6, v5, v4
	v_mul_f16_sdwa v4, v14, v19 dst_sel:DWORD dst_unused:UNUSED_PAD src0_sel:WORD_1 src1_sel:DWORD
	s_waitcnt vmcnt(3)
	v_lshrrev_b32_e32 v6, 16, v15
	v_fma_f16 v5, v14, v19, -v20
	s_waitcnt vmcnt(2)
	v_mul_f16_sdwa v19, v16, v15 dst_sel:DWORD dst_unused:UNUSED_PAD src0_sel:WORD_1 src1_sel:DWORD
	v_pack_b32_f16 v2, v2, v3
	v_fma_f16 v3, v14, v7, v4
	v_mul_f16_sdwa v4, v16, v6 dst_sel:DWORD dst_unused:UNUSED_PAD src0_sel:WORD_1 src1_sel:DWORD
	s_waitcnt vmcnt(1)
	v_lshrrev_b32_e32 v7, 16, v17
	v_fma_f16 v6, v16, v6, -v19
	s_waitcnt vmcnt(0)
	v_mul_f16_sdwa v14, v18, v17 dst_sel:DWORD dst_unused:UNUSED_PAD src0_sel:WORD_1 src1_sel:DWORD
	ds_write2_b32 v13, v1, v2 offset0:10 offset1:26
	v_pack_b32_f16 v1, v3, v5
	v_fma_f16 v2, v16, v15, v4
	v_mul_f16_sdwa v3, v18, v7 dst_sel:DWORD dst_unused:UNUSED_PAD src0_sel:WORD_1 src1_sel:DWORD
	v_fma_f16 v4, v18, v7, -v14
	v_pack_b32_f16 v2, v2, v6
	v_fma_f16 v3, v18, v17, v3
	ds_write2_b32 v13, v1, v2 offset0:42 offset1:58
	v_pack_b32_f16 v1, v3, v4
	ds_write_b32 v13, v1 offset:296
.LBB0_3:
	s_or_b64 exec, exec, s[6:7]
	s_waitcnt lgkmcnt(0)
	; wave barrier
	s_waitcnt lgkmcnt(0)
	ds_read_b32 v18, v31
	ds_read2_b32 v[16:17], v13 offset0:16 offset1:32
	ds_read2_b32 v[6:7], v13 offset0:48 offset1:64
	s_load_dwordx2 s[4:5], s[0:1], 0x8
                                        ; implicit-def: $vgpr1
                                        ; implicit-def: $vgpr3
                                        ; implicit-def: $vgpr5
	s_and_saveexec_b64 s[0:1], vcc
	s_cbranch_execz .LBB0_5
; %bb.4:
	ds_read2_b32 v[4:5], v13 offset0:10 offset1:26
	ds_read2_b32 v[2:3], v13 offset0:42 offset1:58
	ds_read_b32 v1, v13 offset:296
.LBB0_5:
	s_or_b64 exec, exec, s[0:1]
	s_waitcnt lgkmcnt(0)
	v_pk_add_f16 v14, v3, v2
	v_pk_add_f16 v34, v5, v1 neg_lo:[0,1] neg_hi:[0,1]
	s_movk_i32 s0, 0x3b9c
	v_pk_fma_f16 v14, v14, 0.5, v4 op_sel_hi:[1,0,1] neg_lo:[1,0,0] neg_hi:[1,0,0]
	v_pk_mul_f16 v33, v34, s0 op_sel_hi:[1,0]
	v_pk_add_f16 v35, v2, v3 neg_lo:[0,1] neg_hi:[0,1]
	s_movk_i32 s1, 0x38b4
	v_pk_add_f16 v15, v5, v2 neg_lo:[0,1] neg_hi:[0,1]
	v_pk_add_f16 v20, v1, v3 neg_lo:[0,1] neg_hi:[0,1]
	v_pk_mul_f16 v21, v35, s1 op_sel_hi:[1,0]
	v_pk_add_f16 v15, v20, v15
	s_movk_i32 s7, 0x34f2
	v_pk_add_f16 v36, v33, v14 op_sel:[1,0] op_sel_hi:[0,1]
	v_pk_add_f16 v19, v14, v33 op_sel:[0,1] op_sel_hi:[1,0] neg_lo:[0,1] neg_hi:[0,1]
	v_pk_mul_f16 v20, v15, s7 op_sel_hi:[1,0]
	v_add_f16_sdwa v14, v21, v36 dst_sel:DWORD dst_unused:UNUSED_PAD src0_sel:DWORD src1_sel:WORD_1
	v_pk_add_f16 v42, v16, v7
	v_pk_add_f16 v43, v16, v7 neg_lo:[0,1] neg_hi:[0,1]
	v_pk_add_f16 v45, v16, v17 neg_lo:[0,1] neg_hi:[0,1]
	;; [unrolled: 1-line block ×3, first 2 shown]
	v_add_f16_sdwa v33, v20, v14 dst_sel:DWORD dst_unused:UNUSED_PAD src0_sel:WORD_1 src1_sel:DWORD
	v_pk_add_f16 v14, v1, v5
	v_pk_add_f16 v16, v18, v16
	v_pk_fma_f16 v39, v14, 0.5, v4 op_sel_hi:[1,0,1] neg_lo:[1,0,0] neg_hi:[1,0,0]
	v_pk_mul_f16 v35, v35, s0 op_sel_hi:[1,0]
	v_pk_add_f16 v16, v16, v17
	v_pk_add_f16 v41, v17, v6
	v_pk_add_f16 v44, v17, v6 neg_lo:[0,1] neg_hi:[0,1]
	v_pk_add_f16 v47, v7, v6 neg_lo:[0,1] neg_hi:[0,1]
	;; [unrolled: 1-line block ×3, first 2 shown]
	v_pk_add_f16 v37, v35, v39 op_sel:[1,0] op_sel_hi:[0,1]
	v_pk_add_f16 v39, v39, v35 op_sel:[0,1] op_sel_hi:[1,0] neg_lo:[0,1] neg_hi:[0,1]
	v_mul_lo_u16_e32 v35, 5, v10
	v_pk_add_f16 v6, v16, v6
	v_add_lshl_u32 v35, v32, v35, 2
	v_pk_add_f16 v6, v6, v7
	s_waitcnt lgkmcnt(0)
	; wave barrier
	ds_write_b32 v35, v6
	v_pk_fma_f16 v6, v42, -0.5, v18 op_sel_hi:[1,0,1]
	v_pk_mul_f16 v16, v44, s0 op_sel_hi:[1,0]
	v_pk_fma_f16 v7, v41, -0.5, v18 op_sel_hi:[1,0,1]
	v_pk_mul_f16 v17, v43, s0 op_sel_hi:[1,0]
	v_pk_mul_f16 v18, v43, s1 op_sel_hi:[1,0]
	v_pk_add_f16 v43, v45, v47
	v_pk_add_f16 v45, v6, v16 op_sel:[0,1] op_sel_hi:[1,0]
	v_pk_add_f16 v6, v6, v16 op_sel:[0,1] op_sel_hi:[1,0] neg_lo:[0,1] neg_hi:[0,1]
	s_mov_b32 s6, 0xffff
	v_pk_mul_f16 v41, v44, s1 op_sel_hi:[1,0]
	v_pk_add_f16 v42, v46, v48
	v_pk_add_f16 v44, v7, v17 op_sel:[0,1] op_sel_hi:[1,0]
	v_pk_add_f16 v7, v7, v17 op_sel:[0,1] op_sel_hi:[1,0] neg_lo:[0,1] neg_hi:[0,1]
	v_bfi_b32 v16, s6, v6, v45
	v_pk_add_f16 v46, v6, v18 op_sel:[0,1] op_sel_hi:[1,0]
	v_bfi_b32 v6, s6, v45, v6
	v_pk_mul_f16 v40, v34, s1 op_sel_hi:[1,0]
	v_pk_add_f16 v14, v2, v5 neg_lo:[0,1] neg_hi:[0,1]
	v_pk_add_f16 v34, v3, v1 neg_lo:[0,1] neg_hi:[0,1]
	v_bfi_b32 v17, s6, v0, v7
	v_pk_add_f16 v44, v44, v41 op_sel:[0,1] op_sel_hi:[1,0]
	v_pk_add_f16 v6, v6, v18 op_sel:[0,1] op_sel_hi:[1,0] neg_lo:[0,1] neg_hi:[0,1]
	v_pk_add_f16 v7, v7, v41 op_sel:[0,1] op_sel_hi:[1,0] neg_lo:[0,1] neg_hi:[0,1]
	v_pk_add_f16 v14, v34, v14
	v_pk_add_f16 v16, v16, v18 op_sel:[0,1] op_sel_hi:[1,0] neg_lo:[0,1] neg_hi:[0,1]
	v_pk_add_f16 v17, v17, v41 op_sel:[0,1] op_sel_hi:[1,0] neg_lo:[0,1] neg_hi:[0,1]
	v_bfi_b32 v6, s6, v6, v46
	v_bfi_b32 v7, s6, v7, v44
	v_sub_f16_sdwa v15, v19, v21 dst_sel:DWORD dst_unused:UNUSED_PAD src0_sel:DWORD src1_sel:WORD_1
	v_pk_mul_f16 v38, v14, s7 op_sel_hi:[1,0]
	v_sub_f16_sdwa v14, v37, v40 dst_sel:DWORD dst_unused:UNUSED_PAD src0_sel:DWORD src1_sel:WORD_1
	v_add_f16_sdwa v34, v40, v39 dst_sel:DWORD dst_unused:UNUSED_PAD src0_sel:DWORD src1_sel:WORD_1
	v_bfi_b32 v16, s6, v46, v16
	v_bfi_b32 v17, s6, v44, v17
	v_pk_fma_f16 v7, v43, s7, v7 op_sel_hi:[1,0,1]
	v_pk_fma_f16 v6, v42, s7, v6 op_sel_hi:[1,0,1]
	v_add_f16_e32 v15, v20, v15
	v_add_f16_e32 v14, v38, v14
	v_add_f16_sdwa v34, v38, v34 dst_sel:DWORD dst_unused:UNUSED_PAD src0_sel:WORD_1 src1_sel:DWORD
	v_pk_fma_f16 v17, v43, s7, v17 op_sel_hi:[1,0,1]
	v_pk_fma_f16 v16, v42, s7, v16 op_sel_hi:[1,0,1]
	ds_write2_b32 v35, v6, v7 offset0:3 offset1:4
	v_mul_u32_u24_e32 v7, 5, v0
	ds_write2_b32 v35, v17, v16 offset0:1 offset1:2
	s_and_saveexec_b64 s[0:1], vcc
	s_cbranch_execz .LBB0_7
; %bb.6:
	v_pk_add_f16 v4, v5, v4
	v_alignbit_b32 v6, v21, v21, 16
	v_pk_add_f16 v2, v2, v4
	v_alignbit_b32 v16, v40, v40, 16
	v_pk_add_f16 v2, v3, v2
	v_pk_add_f16 v3, v19, v6 neg_lo:[0,1] neg_hi:[0,1]
	v_pk_add_f16 v1, v1, v2
	v_pk_add_f16 v2, v36, v6
	v_add_lshl_u32 v5, v32, v7, 2
	v_bfi_b32 v2, s6, v2, v3
	v_pk_add_f16 v2, v20, v2
	ds_write2_b32 v5, v1, v2 offset1:1
	v_pk_add_f16 v1, v39, v16
	v_pk_add_f16 v2, v37, v16 neg_lo:[0,1] neg_hi:[0,1]
	s_nop 0
	v_bfi_b32 v1, s6, v1, v2
	s_mov_b32 s6, 0x5040100
	v_pk_add_f16 v1, v38, v1
	v_perm_b32 v2, v34, v14, s6
	ds_write2_b32 v5, v1, v2 offset0:2 offset1:3
	v_perm_b32 v1, v33, v15, s6
	ds_write_b32 v5, v1 offset:16
.LBB0_7:
	s_or_b64 exec, exec, s[0:1]
	v_lshl_add_u64 v[2:3], v[10:11], 0, -5
	v_cmp_gt_u16_e64 s[0:1], 5, v10
	v_add_u16_e32 v11, 20, v10
	s_waitcnt lgkmcnt(0)
	v_cndmask_b32_e64 v3, v3, 0, s[0:1]
	v_cndmask_b32_e64 v2, v2, v10, s[0:1]
	s_movk_i32 s0, 0xcd
	v_mul_lo_u16_sdwa v1, v0, s0 dst_sel:DWORD dst_unused:UNUSED_PAD src0_sel:BYTE_0 src1_sel:DWORD
	v_mul_lo_u16_sdwa v16, v11, s0 dst_sel:DWORD dst_unused:UNUSED_PAD src0_sel:BYTE_0 src1_sel:DWORD
	v_lshl_add_u64 v[4:5], v[2:3], 2, s[4:5]
	v_lshrrev_b16_e32 v3, 10, v1
	v_lshrrev_b16_e32 v18, 10, v16
	v_mul_lo_u16_e32 v1, 5, v3
	v_mul_lo_u16_e32 v16, 5, v18
	; wave barrier
	v_sub_u16_e32 v6, v0, v1
	v_mov_b32_e32 v0, 2
	v_sub_u16_e32 v19, v11, v16
	global_load_dword v11, v[4:5], off
	v_add_u16_e32 v5, 30, v10
	v_lshlrev_b32_sdwa v1, v0, v6 dst_sel:DWORD dst_unused:UNUSED_PAD src0_sel:DWORD src1_sel:BYTE_0
	v_mul_lo_u16_sdwa v16, v5, s0 dst_sel:DWORD dst_unused:UNUSED_PAD src0_sel:BYTE_0 src1_sel:DWORD
	v_lshlrev_b32_sdwa v4, v0, v19 dst_sel:DWORD dst_unused:UNUSED_PAD src0_sel:DWORD src1_sel:BYTE_0
	v_lshrrev_b16_e32 v20, 10, v16
	global_load_dword v38, v1, s[4:5]
	global_load_dword v37, v4, s[4:5]
	v_mul_lo_u16_e32 v16, 5, v20
	v_sub_u16_e32 v21, v5, v16
	v_lshlrev_b32_sdwa v0, v0, v21 dst_sel:DWORD dst_unused:UNUSED_PAD src0_sel:DWORD src1_sel:BYTE_0
	global_load_dword v36, v0, s[4:5]
	ds_read2_b32 v[0:1], v13 offset0:30 offset1:40
	ds_read2_b32 v[4:5], v13 offset0:10 offset1:20
	;; [unrolled: 1-line block ×3, first 2 shown]
	ds_read_b32 v41, v31
	ds_read_b32 v42, v13 offset:280
	v_cmp_lt_u16_e64 s[0:1], 4, v10
	v_mad_legacy_u16 v3, v3, 10, v6
	s_waitcnt lgkmcnt(4)
	v_lshrrev_b32_e32 v43, 16, v1
	v_cndmask_b32_e64 v39, 0, 10, s[0:1]
	v_and_b32_e32 v3, 0xff, v3
	v_add_u32_e32 v2, v2, v39
	v_mad_legacy_u16 v6, v18, 10, v19
	v_add_lshl_u32 v40, v32, v3, 2
	v_add_lshl_u32 v39, v32, v2, 2
	s_waitcnt lgkmcnt(1)
	v_lshrrev_b32_e32 v2, 16, v41
	v_lshrrev_b32_e32 v45, 16, v16
	;; [unrolled: 1-line block ×5, first 2 shown]
	s_waitcnt lgkmcnt(0)
	v_lshrrev_b32_e32 v49, 16, v42
	s_waitcnt lgkmcnt(0)
	; wave barrier
	v_and_b32_e32 v6, 0xff, v6
	v_lshrrev_b32_e32 v48, 16, v0
	s_waitcnt vmcnt(3)
	v_mul_f16_sdwa v3, v43, v11 dst_sel:DWORD dst_unused:UNUSED_PAD src0_sel:DWORD src1_sel:WORD_1
	v_mul_f16_sdwa v18, v1, v11 dst_sel:DWORD dst_unused:UNUSED_PAD src0_sel:DWORD src1_sel:WORD_1
	v_fma_f16 v1, v1, v11, -v3
	v_fma_f16 v3, v43, v11, v18
	v_sub_f16_e32 v1, v41, v1
	v_sub_f16_e32 v3, v2, v3
	s_waitcnt vmcnt(2)
	v_mul_f16_sdwa v18, v45, v38 dst_sel:DWORD dst_unused:UNUSED_PAD src0_sel:DWORD src1_sel:WORD_1
	v_mul_f16_sdwa v19, v16, v38 dst_sel:DWORD dst_unused:UNUSED_PAD src0_sel:DWORD src1_sel:WORD_1
	s_waitcnt vmcnt(1)
	v_mul_f16_sdwa v43, v47, v37 dst_sel:DWORD dst_unused:UNUSED_PAD src0_sel:DWORD src1_sel:WORD_1
	v_mul_f16_sdwa v50, v17, v37 dst_sel:DWORD dst_unused:UNUSED_PAD src0_sel:DWORD src1_sel:WORD_1
	v_fma_f16 v41, v41, 2.0, -v1
	v_fma_f16 v2, v2, 2.0, -v3
	v_pack_b32_f16 v1, v1, v3
	v_fma_f16 v3, v16, v38, -v18
	v_fma_f16 v16, v45, v38, v19
	v_fma_f16 v17, v17, v37, -v43
	v_fma_f16 v18, v47, v37, v50
	v_pack_b32_f16 v2, v41, v2
	v_sub_f16_e32 v3, v4, v3
	v_sub_f16_e32 v16, v44, v16
	v_sub_f16_e32 v17, v5, v17
	v_sub_f16_e32 v18, v46, v18
	ds_write2_b32 v39, v2, v1 offset1:5
	v_fma_f16 v1, v4, 2.0, -v3
	v_fma_f16 v2, v44, 2.0, -v16
	s_waitcnt vmcnt(0)
	v_mul_f16_sdwa v51, v49, v36 dst_sel:DWORD dst_unused:UNUSED_PAD src0_sel:DWORD src1_sel:WORD_1
	v_mul_f16_sdwa v52, v42, v36 dst_sel:DWORD dst_unused:UNUSED_PAD src0_sel:DWORD src1_sel:WORD_1
	v_fma_f16 v4, v5, 2.0, -v17
	v_fma_f16 v5, v46, 2.0, -v18
	v_pack_b32_f16 v3, v3, v16
	v_pack_b32_f16 v1, v1, v2
	v_fma_f16 v19, v42, v36, -v51
	v_fma_f16 v42, v49, v36, v52
	ds_write2_b32 v40, v1, v3 offset1:5
	v_add_lshl_u32 v41, v32, v6, 2
	v_pack_b32_f16 v1, v4, v5
	v_pack_b32_f16 v2, v17, v18
	v_sub_f16_e32 v19, v0, v19
	v_sub_f16_e32 v43, v48, v42
	ds_write2_b32 v41, v1, v2 offset1:5
	v_mad_legacy_u16 v1, v20, 10, v21
	v_fma_f16 v0, v0, 2.0, -v19
	v_fma_f16 v44, v48, 2.0, -v43
	v_and_b32_e32 v1, 0xff, v1
	v_add_lshl_u32 v42, v32, v1, 2
	v_pack_b32_f16 v0, v0, v44
	v_pack_b32_f16 v1, v19, v43
	v_mad_u64_u32 v[16:17], s[0:1], v10, 28, s[4:5]
	ds_write2_b32 v42, v0, v1 offset1:5
	s_waitcnt lgkmcnt(0)
	; wave barrier
	s_waitcnt lgkmcnt(0)
	global_load_dwordx4 v[0:3], v[16:17], off offset:20
	global_load_dwordx3 v[4:6], v[16:17], off offset:36
	ds_read_b32 v43, v31
	ds_read2_b32 v[16:17], v13 offset0:10 offset1:20
	ds_read2_b32 v[18:19], v13 offset0:30 offset1:40
	;; [unrolled: 1-line block ×3, first 2 shown]
	ds_read_b32 v44, v13 offset:280
	s_waitcnt lgkmcnt(4)
	v_lshrrev_b32_e32 v45, 16, v43
	s_waitcnt lgkmcnt(3)
	v_lshrrev_b32_e32 v46, 16, v16
	v_lshrrev_b32_e32 v47, 16, v17
	s_waitcnt lgkmcnt(2)
	v_lshrrev_b32_e32 v48, 16, v18
	;; [unrolled: 3-line block ×4, first 2 shown]
	s_mov_b32 s0, 0xb9a8
	s_movk_i32 s1, 0x39a8
	s_add_u32 s4, s12, 0x140
	s_addc_u32 s5, s13, 0
	s_waitcnt vmcnt(1)
	v_mul_f16_sdwa v53, v46, v0 dst_sel:DWORD dst_unused:UNUSED_PAD src0_sel:DWORD src1_sel:WORD_1
	v_mul_f16_sdwa v54, v16, v0 dst_sel:DWORD dst_unused:UNUSED_PAD src0_sel:DWORD src1_sel:WORD_1
	;; [unrolled: 1-line block ×8, first 2 shown]
	s_waitcnt vmcnt(0)
	v_mul_f16_sdwa v61, v50, v4 dst_sel:DWORD dst_unused:UNUSED_PAD src0_sel:DWORD src1_sel:WORD_1
	v_mul_f16_sdwa v62, v20, v4 dst_sel:DWORD dst_unused:UNUSED_PAD src0_sel:DWORD src1_sel:WORD_1
	;; [unrolled: 1-line block ×6, first 2 shown]
	v_fma_f16 v16, v16, v0, -v53
	v_fma_f16 v46, v46, v0, v54
	v_fma_f16 v17, v17, v1, -v55
	v_fma_f16 v47, v47, v1, v56
	;; [unrolled: 2-line block ×7, first 2 shown]
	v_sub_f16_e32 v19, v43, v19
	v_sub_f16_e32 v49, v45, v49
	;; [unrolled: 1-line block ×8, first 2 shown]
	v_fma_f16 v43, v43, 2.0, -v19
	v_fma_f16 v45, v45, 2.0, -v49
	;; [unrolled: 1-line block ×8, first 2 shown]
	v_sub_f16_e32 v51, v19, v51
	v_sub_f16_e32 v17, v43, v17
	v_sub_f16_e32 v47, v45, v47
	v_sub_f16_e32 v18, v16, v18
	v_sub_f16_e32 v48, v46, v48
	v_sub_f16_e32 v52, v20, v52
	v_add_f16_e32 v21, v49, v21
	v_fma_f16 v19, v19, 2.0, -v51
	v_fma_f16 v43, v43, 2.0, -v17
	;; [unrolled: 1-line block ×5, first 2 shown]
	v_add_f16_e32 v53, v50, v44
	v_fma_f16 v20, v20, 2.0, -v52
	v_fma_f16 v49, v49, 2.0, -v21
	;; [unrolled: 1-line block ×3, first 2 shown]
	v_sub_f16_e32 v50, v43, v16
	v_sub_f16_e32 v54, v45, v46
	v_fma_f16 v16, v20, s0, v19
	v_fma_f16 v55, v43, 2.0, -v50
	v_fma_f16 v56, v45, 2.0, -v54
	v_fma_f16 v45, v44, s0, v49
	v_fma_f16 v43, v44, s0, v16
	v_sub_f16_e32 v16, v17, v48
	v_fma_f16 v44, v20, s1, v45
	v_add_f16_e32 v45, v47, v18
	v_fma_f16 v18, v17, 2.0, -v16
	v_fma_f16 v17, v52, s1, v51
	v_fma_f16 v46, v53, s1, v21
	v_fma_f16 v19, v19, 2.0, -v43
	v_fma_f16 v20, v49, 2.0, -v44
	;; [unrolled: 1-line block ×3, first 2 shown]
	v_fma_f16 v17, v53, s0, v17
	v_fma_f16 v46, v52, s1, v46
	v_fma_f16 v48, v51, 2.0, -v17
	v_fma_f16 v21, v21, 2.0, -v46
	v_pack_b32_f16 v49, v55, v56
	v_pack_b32_f16 v19, v19, v20
	;; [unrolled: 1-line block ×3, first 2 shown]
	ds_write_b32 v31, v49
	ds_write2_b32 v13, v19, v18 offset0:10 offset1:20
	v_pack_b32_f16 v18, v48, v21
	v_pack_b32_f16 v19, v50, v54
	ds_write2_b32 v13, v18, v19 offset0:30 offset1:40
	v_pack_b32_f16 v18, v43, v44
	v_pack_b32_f16 v19, v16, v45
	ds_write2_b32 v13, v18, v19 offset0:50 offset1:60
	v_pack_b32_f16 v18, v17, v46
	ds_write_b32 v13, v18 offset:280
	s_waitcnt lgkmcnt(0)
	; wave barrier
	s_waitcnt lgkmcnt(0)
	global_load_dword v19, v[8:9], off offset:320
	v_lshlrev_b32_e32 v18, 2, v10
	global_load_dword v47, v18, s[4:5] offset:64
	global_load_dword v50, v18, s[4:5] offset:128
	;; [unrolled: 1-line block ×4, first 2 shown]
	ds_read_b32 v20, v31
	s_waitcnt lgkmcnt(0)
	v_lshrrev_b32_e32 v21, 16, v20
	s_waitcnt vmcnt(4)
	v_mul_f16_sdwa v48, v21, v19 dst_sel:DWORD dst_unused:UNUSED_PAD src0_sel:DWORD src1_sel:WORD_1
	v_mul_f16_sdwa v49, v20, v19 dst_sel:DWORD dst_unused:UNUSED_PAD src0_sel:DWORD src1_sel:WORD_1
	v_fma_f16 v20, v20, v19, -v48
	v_fma_f16 v19, v21, v19, v49
	v_pack_b32_f16 v19, v20, v19
	ds_write_b32 v31, v19
	ds_read2_b32 v[20:21], v13 offset0:16 offset1:32
	ds_read2_b32 v[48:49], v13 offset0:48 offset1:64
	s_waitcnt lgkmcnt(1)
	v_lshrrev_b32_e32 v19, 16, v20
	s_waitcnt vmcnt(3)
	v_mul_f16_sdwa v53, v20, v47 dst_sel:DWORD dst_unused:UNUSED_PAD src0_sel:DWORD src1_sel:WORD_1
	v_lshrrev_b32_e32 v54, 16, v21
	s_waitcnt vmcnt(2)
	v_mul_f16_sdwa v55, v21, v50 dst_sel:DWORD dst_unused:UNUSED_PAD src0_sel:DWORD src1_sel:WORD_1
	s_waitcnt lgkmcnt(0)
	v_lshrrev_b32_e32 v56, 16, v48
	s_waitcnt vmcnt(1)
	v_mul_f16_sdwa v57, v48, v51 dst_sel:DWORD dst_unused:UNUSED_PAD src0_sel:DWORD src1_sel:WORD_1
	v_lshrrev_b32_e32 v58, 16, v49
	v_mul_f16_sdwa v60, v19, v47 dst_sel:DWORD dst_unused:UNUSED_PAD src0_sel:DWORD src1_sel:WORD_1
	v_fma_f16 v19, v19, v47, v53
	v_mul_f16_sdwa v53, v54, v50 dst_sel:DWORD dst_unused:UNUSED_PAD src0_sel:DWORD src1_sel:WORD_1
	s_waitcnt vmcnt(0)
	v_mul_f16_sdwa v59, v49, v52 dst_sel:DWORD dst_unused:UNUSED_PAD src0_sel:DWORD src1_sel:WORD_1
	v_fma_f16 v54, v54, v50, v55
	v_mul_f16_sdwa v55, v56, v51 dst_sel:DWORD dst_unused:UNUSED_PAD src0_sel:DWORD src1_sel:WORD_1
	v_fma_f16 v56, v56, v51, v57
	v_mul_f16_sdwa v57, v58, v52 dst_sel:DWORD dst_unused:UNUSED_PAD src0_sel:DWORD src1_sel:WORD_1
	v_fma_f16 v20, v20, v47, -v60
	v_fma_f16 v21, v21, v50, -v53
	v_fma_f16 v58, v58, v52, v59
	v_fma_f16 v47, v48, v51, -v55
	v_fma_f16 v48, v49, v52, -v57
	v_pack_b32_f16 v19, v20, v19
	v_pack_b32_f16 v20, v21, v54
	;; [unrolled: 1-line block ×4, first 2 shown]
	ds_write2_b32 v13, v19, v20 offset0:16 offset1:32
	ds_write2_b32 v13, v21, v47 offset0:48 offset1:64
	s_and_saveexec_b64 s[0:1], vcc
	s_cbranch_execz .LBB0_9
; %bb.8:
	v_mov_b32_e32 v19, 0
	v_lshl_add_u64 v[18:19], s[4:5], 0, v[18:19]
	global_load_dword v47, v[18:19], off offset:40
	global_load_dword v48, v[18:19], off offset:104
	;; [unrolled: 1-line block ×5, first 2 shown]
	ds_read2_b32 v[18:19], v13 offset0:10 offset1:26
	ds_read2_b32 v[20:21], v13 offset0:42 offset1:58
	ds_read_b32 v52, v13 offset:296
	s_waitcnt lgkmcnt(2)
	v_lshrrev_b32_e32 v53, 16, v18
	v_lshrrev_b32_e32 v54, 16, v19
	s_waitcnt lgkmcnt(1)
	v_lshrrev_b32_e32 v55, 16, v20
	v_lshrrev_b32_e32 v56, 16, v21
	s_waitcnt lgkmcnt(0)
	v_lshrrev_b32_e32 v57, 16, v52
	s_waitcnt vmcnt(4)
	v_mul_f16_sdwa v58, v53, v47 dst_sel:DWORD dst_unused:UNUSED_PAD src0_sel:DWORD src1_sel:WORD_1
	v_mul_f16_sdwa v59, v18, v47 dst_sel:DWORD dst_unused:UNUSED_PAD src0_sel:DWORD src1_sel:WORD_1
	s_waitcnt vmcnt(3)
	v_mul_f16_sdwa v60, v54, v48 dst_sel:DWORD dst_unused:UNUSED_PAD src0_sel:DWORD src1_sel:WORD_1
	v_mul_f16_sdwa v61, v19, v48 dst_sel:DWORD dst_unused:UNUSED_PAD src0_sel:DWORD src1_sel:WORD_1
	;; [unrolled: 3-line block ×5, first 2 shown]
	v_fma_f16 v18, v18, v47, -v58
	v_fma_f16 v47, v53, v47, v59
	v_fma_f16 v19, v19, v48, -v60
	v_fma_f16 v48, v54, v48, v61
	;; [unrolled: 2-line block ×5, first 2 shown]
	v_pack_b32_f16 v18, v18, v47
	v_pack_b32_f16 v19, v19, v48
	;; [unrolled: 1-line block ×5, first 2 shown]
	ds_write2_b32 v13, v18, v19 offset0:10 offset1:26
	ds_write2_b32 v13, v20, v21 offset0:42 offset1:58
	ds_write_b32 v13, v47 offset:296
.LBB0_9:
	s_or_b64 exec, exec, s[0:1]
	s_waitcnt lgkmcnt(0)
	; wave barrier
	s_waitcnt lgkmcnt(0)
	ds_read_b32 v47, v31
	ds_read2_b32 v[20:21], v13 offset0:16 offset1:32
	ds_read2_b32 v[18:19], v13 offset0:48 offset1:64
	s_and_saveexec_b64 s[0:1], vcc
	s_cbranch_execz .LBB0_11
; %bb.10:
	v_lshlrev_b32_e32 v14, 2, v32
	v_lshl_add_u32 v14, v10, 2, v14
	ds_read_b32 v43, v13 offset:40
	ds_read2_b32 v[16:17], v14 offset0:26 offset1:42
	ds_read2_b32 v[14:15], v14 offset0:58 offset1:74
	s_waitcnt lgkmcnt(2)
	v_lshrrev_b32_e32 v44, 16, v43
	s_waitcnt lgkmcnt(1)
	v_lshrrev_b32_e32 v45, 16, v16
	v_lshrrev_b32_e32 v46, 16, v17
	s_waitcnt lgkmcnt(0)
	v_lshrrev_b32_e32 v34, 16, v14
	v_lshrrev_b32_e32 v33, 16, v15
.LBB0_11:
	s_or_b64 exec, exec, s[0:1]
	s_waitcnt lgkmcnt(0)
	v_pk_add_f16 v49, v20, v19
	v_pk_add_f16 v50, v20, v19 neg_lo:[0,1] neg_hi:[0,1]
	v_pk_add_f16 v52, v21, v20 neg_lo:[0,1] neg_hi:[0,1]
	;; [unrolled: 1-line block ×3, first 2 shown]
	v_pk_add_f16 v20, v47, v20
	v_pk_add_f16 v48, v21, v18
	v_pk_add_f16 v20, v20, v21
	v_pk_add_f16 v51, v21, v18 neg_lo:[0,1] neg_hi:[0,1]
	v_pk_add_f16 v54, v18, v19 neg_lo:[0,1] neg_hi:[0,1]
	;; [unrolled: 1-line block ×3, first 2 shown]
	v_pk_add_f16 v18, v20, v18
	s_movk_i32 s5, 0x3b9c
	v_pk_add_f16 v18, v18, v19
	s_waitcnt lgkmcnt(0)
	; wave barrier
	ds_write_b32 v35, v18
	v_pk_fma_f16 v18, v49, -0.5, v47 op_sel_hi:[1,0,1]
	v_pk_mul_f16 v20, v51, s5 op_sel_hi:[1,0]
	s_movk_i32 s6, 0x38b4
	v_pk_fma_f16 v19, v48, -0.5, v47 op_sel_hi:[1,0,1]
	v_pk_mul_f16 v21, v50, s5 op_sel_hi:[1,0]
	v_pk_mul_f16 v48, v50, s6 op_sel_hi:[1,0]
	v_pk_add_f16 v50, v52, v54
	v_pk_add_f16 v52, v18, v20 op_sel:[0,1] op_sel_hi:[1,0] neg_lo:[0,1] neg_hi:[0,1]
	v_pk_add_f16 v18, v18, v20 op_sel:[0,1] op_sel_hi:[1,0]
	s_mov_b32 s4, 0xffff
	v_pk_mul_f16 v47, v51, s6 op_sel_hi:[1,0]
	v_pk_add_f16 v51, v19, v21 op_sel:[0,1] op_sel_hi:[1,0] neg_lo:[0,1] neg_hi:[0,1]
	v_pk_add_f16 v19, v19, v21 op_sel:[0,1] op_sel_hi:[1,0]
	v_bfi_b32 v20, s4, v18, v52
	v_pk_add_f16 v49, v53, v55
	v_pk_add_f16 v20, v20, v48 op_sel:[0,1] op_sel_hi:[1,0] neg_lo:[0,1] neg_hi:[0,1]
	v_pk_add_f16 v21, v51, v47 op_sel:[0,1] op_sel_hi:[1,0] neg_lo:[0,1] neg_hi:[0,1]
	v_pk_add_f16 v53, v52, v48 op_sel:[0,1] op_sel_hi:[1,0]
	v_pk_add_f16 v19, v19, v47 op_sel:[0,1] op_sel_hi:[1,0]
	v_bfi_b32 v20, s4, v20, v53
	v_bfi_b32 v21, s4, v21, v19
	v_pk_fma_f16 v20, v50, s7, v20 op_sel_hi:[1,0,1]
	v_pk_fma_f16 v21, v49, s7, v21 op_sel_hi:[1,0,1]
	ds_write2_b32 v35, v21, v20 offset0:1 offset1:2
	v_bfi_b32 v18, s4, v52, v18
	v_bfi_b32 v20, s4, v0, v51
	v_pk_add_f16 v18, v18, v48 op_sel:[0,1] op_sel_hi:[1,0] neg_lo:[0,1] neg_hi:[0,1]
	v_pk_add_f16 v20, v20, v47 op_sel:[0,1] op_sel_hi:[1,0] neg_lo:[0,1] neg_hi:[0,1]
	v_bfi_b32 v18, s4, v53, v18
	v_bfi_b32 v19, s4, v19, v20
	v_pk_fma_f16 v19, v49, s7, v19 op_sel_hi:[1,0,1]
	v_pk_fma_f16 v18, v50, s7, v18 op_sel_hi:[1,0,1]
	ds_write2_b32 v35, v18, v19 offset0:3 offset1:4
	s_and_saveexec_b64 s[0:1], vcc
	s_cbranch_execz .LBB0_13
; %bb.12:
	v_sub_f16_e32 v18, v46, v45
	v_sub_f16_e32 v19, v34, v33
	;; [unrolled: 1-line block ×4, first 2 shown]
	v_add_f16_e32 v18, v19, v18
	v_sub_f16_e32 v19, v16, v15
	v_add_f16_e32 v47, v48, v47
	v_add_f16_e32 v48, v15, v16
	v_sub_f16_e32 v52, v45, v46
	v_sub_f16_e32 v53, v33, v34
	;; [unrolled: 1-line block ×4, first 2 shown]
	v_add_f16_e32 v16, v16, v43
	v_add_f16_e32 v20, v33, v45
	;; [unrolled: 1-line block ×7, first 2 shown]
	v_fma_f16 v20, v20, -0.5, v44
	v_sub_f16_e32 v21, v17, v14
	s_mov_b32 s12, 0xbb9c
	v_sub_f16_e32 v51, v45, v33
	v_fma_f16 v53, v53, -0.5, v44
	v_fma_f16 v56, v56, -0.5, v43
	v_add_f16_e32 v44, v45, v44
	v_add_f16_e32 v14, v14, v16
	v_fma_f16 v35, v21, s12, v20
	v_fma_f16 v48, v48, -0.5, v43
	v_sub_f16_e32 v49, v46, v34
	s_mov_b32 s13, 0xb8b4
	v_fma_f16 v54, v19, s5, v53
	v_fma_f16 v57, v51, s12, v56
	v_add_f16_e32 v44, v46, v44
	v_add_f16_e32 v14, v15, v14
	v_fma_f16 v15, v21, s5, v20
	v_fma_f16 v35, v19, s6, v35
	;; [unrolled: 1-line block ×5, first 2 shown]
	v_add_f16_e32 v34, v34, v44
	v_fma_f16 v15, v19, s13, v15
	v_fma_f16 v17, v49, s12, v48
	;; [unrolled: 1-line block ×6, first 2 shown]
	v_add_f16_e32 v33, v33, v34
	v_fma_f16 v15, v18, s7, v15
	v_fma_f16 v16, v19, s12, v53
	v_fma_f16 v17, v51, s6, v17
	v_fma_f16 v18, v51, s5, v56
	v_fma_f16 v50, v47, s7, v50
	v_fma_f16 v16, v21, s13, v16
	v_fma_f16 v17, v47, s7, v17
	v_fma_f16 v18, v49, s6, v18
	v_add_lshl_u32 v7, v32, v7, 2
	v_pack_b32_f16 v19, v57, v54
	v_pack_b32_f16 v14, v14, v33
	v_fma_f16 v16, v52, s7, v16
	v_fma_f16 v18, v55, s7, v18
	ds_write2_b32 v7, v14, v19 offset1:1
	v_pack_b32_f16 v14, v17, v15
	v_pack_b32_f16 v15, v50, v35
	ds_write2_b32 v7, v15, v14 offset0:2 offset1:3
	v_pack_b32_f16 v14, v18, v16
	ds_write_b32 v7, v14 offset:16
.LBB0_13:
	s_or_b64 exec, exec, s[0:1]
	s_waitcnt lgkmcnt(0)
	; wave barrier
	s_waitcnt lgkmcnt(0)
	ds_read_b32 v7, v31
	ds_read2_b32 v[14:15], v13 offset0:30 offset1:40
	ds_read2_b32 v[16:17], v13 offset0:10 offset1:20
	;; [unrolled: 1-line block ×3, first 2 shown]
	ds_read_b32 v20, v13 offset:280
	s_waitcnt lgkmcnt(4)
	v_lshrrev_b32_e32 v21, 16, v7
	s_waitcnt lgkmcnt(3)
	v_lshrrev_b32_e32 v32, 16, v15
	v_mul_f16_sdwa v46, v11, v32 dst_sel:DWORD dst_unused:UNUSED_PAD src0_sel:WORD_1 src1_sel:DWORD
	s_waitcnt lgkmcnt(1)
	v_lshrrev_b32_e32 v34, 16, v18
	v_fma_f16 v46, v11, v15, v46
	v_mul_f16_sdwa v15, v11, v15 dst_sel:DWORD dst_unused:UNUSED_PAD src0_sel:WORD_1 src1_sel:DWORD
	v_fma_f16 v11, v11, v32, -v15
	v_mul_f16_sdwa v15, v38, v34 dst_sel:DWORD dst_unused:UNUSED_PAD src0_sel:WORD_1 src1_sel:DWORD
	s_waitcnt lgkmcnt(0)
	v_lshrrev_b32_e32 v45, 16, v20
	v_fma_f16 v15, v38, v18, v15
	v_mul_f16_sdwa v18, v38, v18 dst_sel:DWORD dst_unused:UNUSED_PAD src0_sel:WORD_1 src1_sel:DWORD
	v_lshrrev_b32_e32 v43, 16, v19
	v_fma_f16 v18, v38, v34, -v18
	v_mul_f16_sdwa v34, v36, v45 dst_sel:DWORD dst_unused:UNUSED_PAD src0_sel:WORD_1 src1_sel:DWORD
	v_mul_f16_sdwa v32, v37, v43 dst_sel:DWORD dst_unused:UNUSED_PAD src0_sel:WORD_1 src1_sel:DWORD
	v_fma_f16 v34, v36, v20, v34
	v_mul_f16_sdwa v20, v36, v20 dst_sel:DWORD dst_unused:UNUSED_PAD src0_sel:WORD_1 src1_sel:DWORD
	v_lshrrev_b32_e32 v33, 16, v16
	v_fma_f16 v32, v37, v19, v32
	v_mul_f16_sdwa v19, v37, v19 dst_sel:DWORD dst_unused:UNUSED_PAD src0_sel:WORD_1 src1_sel:DWORD
	v_fma_f16 v20, v36, v45, -v20
	v_sub_f16_e32 v36, v7, v46
	v_sub_f16_e32 v11, v21, v11
	v_lshrrev_b32_e32 v35, 16, v17
	v_fma_f16 v19, v37, v43, -v19
	v_fma_f16 v7, v7, 2.0, -v36
	v_fma_f16 v21, v21, 2.0, -v11
	v_sub_f16_e32 v15, v16, v15
	v_sub_f16_e32 v18, v33, v18
	v_lshrrev_b32_e32 v44, 16, v14
	v_fma_f16 v16, v16, 2.0, -v15
	v_fma_f16 v33, v33, 2.0, -v18
	v_sub_f16_e32 v32, v17, v32
	v_sub_f16_e32 v19, v35, v19
	v_pack_b32_f16 v7, v7, v21
	v_pack_b32_f16 v11, v36, v11
	v_fma_f16 v17, v17, 2.0, -v32
	v_fma_f16 v35, v35, 2.0, -v19
	v_sub_f16_e32 v34, v14, v34
	v_sub_f16_e32 v20, v44, v20
	s_waitcnt lgkmcnt(0)
	; wave barrier
	ds_write2_b32 v39, v7, v11 offset1:5
	v_pack_b32_f16 v7, v16, v33
	v_pack_b32_f16 v11, v15, v18
	v_fma_f16 v14, v14, 2.0, -v34
	v_fma_f16 v37, v44, 2.0, -v20
	ds_write2_b32 v40, v7, v11 offset1:5
	v_pack_b32_f16 v7, v17, v35
	v_pack_b32_f16 v11, v32, v19
	ds_write2_b32 v41, v7, v11 offset1:5
	v_pack_b32_f16 v7, v14, v37
	v_pack_b32_f16 v11, v34, v20
	ds_write2_b32 v42, v7, v11 offset1:5
	s_waitcnt lgkmcnt(0)
	; wave barrier
	s_waitcnt lgkmcnt(0)
	ds_read_b32 v7, v31
	ds_read2_b32 v[16:17], v13 offset0:10 offset1:20
	ds_read2_b32 v[18:19], v13 offset0:30 offset1:40
	ds_read_b32 v11, v13 offset:280
	ds_read2_b32 v[20:21], v13 offset0:50 offset1:60
	s_mov_b32 s0, 0xb9a8
	s_waitcnt lgkmcnt(3)
	v_lshrrev_b32_e32 v32, 16, v16
	v_mul_f16_sdwa v39, v0, v32 dst_sel:DWORD dst_unused:UNUSED_PAD src0_sel:WORD_1 src1_sel:DWORD
	v_lshrrev_b32_e32 v33, 16, v17
	v_fma_f16 v39, v0, v16, v39
	v_mul_f16_sdwa v16, v0, v16 dst_sel:DWORD dst_unused:UNUSED_PAD src0_sel:WORD_1 src1_sel:DWORD
	v_fma_f16 v0, v0, v32, -v16
	v_mul_f16_sdwa v16, v1, v33 dst_sel:DWORD dst_unused:UNUSED_PAD src0_sel:WORD_1 src1_sel:DWORD
	s_waitcnt lgkmcnt(2)
	v_lshrrev_b32_e32 v34, 16, v18
	v_fma_f16 v16, v1, v17, v16
	v_mul_f16_sdwa v17, v1, v17 dst_sel:DWORD dst_unused:UNUSED_PAD src0_sel:WORD_1 src1_sel:DWORD
	v_fma_f16 v1, v1, v33, -v17
	v_mul_f16_sdwa v17, v2, v34 dst_sel:DWORD dst_unused:UNUSED_PAD src0_sel:WORD_1 src1_sel:DWORD
	v_lshrrev_b32_e32 v35, 16, v19
	v_fma_f16 v17, v2, v18, v17
	v_mul_f16_sdwa v18, v2, v18 dst_sel:DWORD dst_unused:UNUSED_PAD src0_sel:WORD_1 src1_sel:DWORD
	v_fma_f16 v2, v2, v34, -v18
	v_mul_f16_sdwa v18, v3, v35 dst_sel:DWORD dst_unused:UNUSED_PAD src0_sel:WORD_1 src1_sel:DWORD
	s_waitcnt lgkmcnt(0)
	v_lshrrev_b32_e32 v36, 16, v20
	v_fma_f16 v18, v3, v19, v18
	v_mul_f16_sdwa v19, v3, v19 dst_sel:DWORD dst_unused:UNUSED_PAD src0_sel:WORD_1 src1_sel:DWORD
	v_fma_f16 v3, v3, v35, -v19
	v_mul_f16_sdwa v19, v4, v36 dst_sel:DWORD dst_unused:UNUSED_PAD src0_sel:WORD_1 src1_sel:DWORD
	v_lshrrev_b32_e32 v37, 16, v21
	v_fma_f16 v19, v4, v20, v19
	v_mul_f16_sdwa v20, v4, v20 dst_sel:DWORD dst_unused:UNUSED_PAD src0_sel:WORD_1 src1_sel:DWORD
	v_fma_f16 v4, v4, v36, -v20
	v_mul_f16_sdwa v20, v5, v37 dst_sel:DWORD dst_unused:UNUSED_PAD src0_sel:WORD_1 src1_sel:DWORD
	;; [unrolled: 5-line block ×3, first 2 shown]
	v_fma_f16 v21, v6, v11, v21
	v_mul_f16_sdwa v11, v6, v11 dst_sel:DWORD dst_unused:UNUSED_PAD src0_sel:WORD_1 src1_sel:DWORD
	v_lshrrev_b32_e32 v15, 16, v7
	v_fma_f16 v6, v6, v38, -v11
	v_sub_f16_e32 v11, v7, v18
	v_sub_f16_e32 v3, v15, v3
	;; [unrolled: 1-line block ×8, first 2 shown]
	v_fma_f16 v7, v7, 2.0, -v11
	v_fma_f16 v15, v15, 2.0, -v3
	;; [unrolled: 1-line block ×8, first 2 shown]
	v_add_f16_e32 v5, v11, v5
	v_sub_f16_e32 v18, v3, v18
	v_add_f16_e32 v6, v19, v6
	v_sub_f16_e32 v21, v4, v21
	v_sub_f16_e32 v16, v7, v16
	v_sub_f16_e32 v1, v15, v1
	v_fma_f16 v11, v11, 2.0, -v5
	v_fma_f16 v3, v3, 2.0, -v18
	v_sub_f16_e32 v17, v20, v17
	v_sub_f16_e32 v2, v0, v2
	v_fma_f16 v19, v19, 2.0, -v6
	v_fma_f16 v4, v4, 2.0, -v21
	;; [unrolled: 1-line block ×6, first 2 shown]
	v_fma_f16 v32, v19, s0, v11
	v_fma_f16 v33, v4, s0, v3
	s_movk_i32 s1, 0x39a8
	v_sub_f16_e32 v20, v7, v20
	v_sub_f16_e32 v0, v15, v0
	v_fma_f16 v4, v4, s1, v32
	v_fma_f16 v19, v19, s0, v33
	v_add_f16_e32 v2, v16, v2
	v_sub_f16_e32 v17, v1, v17
	v_fma_f16 v32, v6, s1, v5
	v_fma_f16 v33, v21, s1, v18
	v_fma_f16 v7, v7, 2.0, -v20
	v_fma_f16 v15, v15, 2.0, -v0
	v_fma_f16 v11, v11, 2.0, -v4
	v_fma_f16 v3, v3, 2.0, -v19
	v_fma_f16 v16, v16, 2.0, -v2
	v_fma_f16 v1, v1, 2.0, -v17
	v_fma_f16 v21, v21, s1, v32
	v_fma_f16 v6, v6, s0, v33
	v_fma_f16 v5, v5, 2.0, -v21
	v_fma_f16 v18, v18, 2.0, -v6
	v_pack_b32_f16 v7, v7, v15
	v_pack_b32_f16 v3, v11, v3
	;; [unrolled: 1-line block ×3, first 2 shown]
	ds_write_b32 v31, v7
	ds_write2_b32 v13, v3, v1 offset0:10 offset1:20
	v_pack_b32_f16 v1, v5, v18
	v_pack_b32_f16 v0, v20, v0
	ds_write2_b32 v13, v1, v0 offset0:30 offset1:40
	v_pack_b32_f16 v0, v4, v19
	v_pack_b32_f16 v1, v2, v17
	ds_write2_b32 v13, v0, v1 offset0:50 offset1:60
	v_pack_b32_f16 v0, v21, v6
	ds_write_b32 v13, v0 offset:280
	s_waitcnt lgkmcnt(0)
	; wave barrier
	s_waitcnt lgkmcnt(0)
	ds_read_b32 v5, v31
	v_mad_u64_u32 v[0:1], s[0:1], s10, v12, 0
	v_mov_b32_e32 v2, v1
	v_mad_u64_u32 v[2:3], s[0:1], s11, v12, v[2:3]
	s_waitcnt lgkmcnt(0)
	v_lshrrev_b32_e32 v6, 16, v5
	v_mul_f16_sdwa v1, v30, v6 dst_sel:DWORD dst_unused:UNUSED_PAD src0_sel:WORD_1 src1_sel:DWORD
	v_fma_f16 v1, v30, v5, v1
	v_cvt_f32_f16_e32 v4, v1
	s_mov_b32 s6, 0x9999999a
	v_mov_b32_e32 v1, v2
	s_mov_b32 s7, 0x3f899999
	v_cvt_f64_f32_e32 v[2:3], v4
	v_mul_f64 v[2:3], v[2:3], s[6:7]
	s_movk_i32 s10, 0x1ff
	v_and_or_b32 v2, v3, s10, v2
	v_cmp_ne_u32_e64 s[0:1], 0, v2
	v_lshrrev_b32_e32 v4, 8, v3
	s_movk_i32 s11, 0xffe
	v_cndmask_b32_e64 v2, 0, 1, s[0:1]
	v_bfe_u32 v7, v3, 20, 11
	v_and_or_b32 v2, v4, s11, v2
	v_sub_u32_e32 v11, 0x3f1, v7
	v_or_b32_e32 v4, 0x1000, v2
	v_med3_i32 v11, v11, 0, 13
	v_lshrrev_b32_e32 v12, v11, v4
	v_lshlrev_b32_e32 v11, v11, v12
	v_cmp_ne_u32_e64 s[0:1], v11, v4
	v_add_u32_e32 v7, 0xfffffc10, v7
	v_lshl_or_b32 v11, v7, 12, v2
	v_cndmask_b32_e64 v4, 0, 1, s[0:1]
	v_or_b32_e32 v4, v12, v4
	v_cmp_gt_i32_e64 s[0:1], 1, v7
	v_mov_b32_e32 v14, s2
	v_mov_b32_e32 v15, s3
	v_cndmask_b32_e64 v4, v11, v4, s[0:1]
	v_and_b32_e32 v11, 7, v4
	v_cmp_lt_i32_e64 s[0:1], 5, v11
	v_cmp_eq_u32_e64 s[2:3], 3, v11
	v_lshrrev_b32_e32 v4, 2, v4
	s_or_b64 s[0:1], s[2:3], s[0:1]
	v_mul_f16_sdwa v5, v30, v5 dst_sel:DWORD dst_unused:UNUSED_PAD src0_sel:WORD_1 src1_sel:DWORD
	v_addc_co_u32_e64 v11, s[0:1], 0, v4, s[0:1]
	v_fma_f16 v5, v30, v6, -v5
	v_mov_b32_e32 v4, 0x7c00
	v_cmp_gt_i32_e64 s[0:1], 31, v7
	v_cvt_f32_f16_e32 v5, v5
	s_movk_i32 s12, 0x40f
	v_cndmask_b32_e64 v11, v4, v11, s[0:1]
	v_cmp_ne_u32_e64 s[0:1], 0, v2
	s_mov_b32 s13, 0x8000
	v_and_b32_sdwa v12, v3, s13 dst_sel:DWORD dst_unused:UNUSED_PAD src0_sel:WORD_1 src1_sel:DWORD
	v_cndmask_b32_e64 v2, 0, 1, s[0:1]
	v_lshl_or_b32 v2, v2, 9, v4
	v_cmp_eq_u32_e64 s[0:1], s12, v7
	s_nop 1
	v_cndmask_b32_e64 v11, v11, v2, s[0:1]
	v_cvt_f64_f32_e32 v[2:3], v5
	v_mul_f64 v[2:3], v[2:3], s[6:7]
	v_and_or_b32 v2, v3, s10, v2
	v_cmp_ne_u32_e64 s[0:1], 0, v2
	v_lshrrev_b32_e32 v5, 8, v3
	v_bfe_u32 v6, v3, 20, 11
	v_cndmask_b32_e64 v2, 0, 1, s[0:1]
	v_and_or_b32 v2, v5, s11, v2
	v_sub_u32_e32 v7, 0x3f1, v6
	v_or_b32_e32 v5, 0x1000, v2
	v_med3_i32 v7, v7, 0, 13
	v_lshrrev_b32_e32 v16, v7, v5
	v_lshlrev_b32_e32 v7, v7, v16
	v_cmp_ne_u32_e64 s[0:1], v7, v5
	v_add_u32_e32 v6, 0xfffffc10, v6
	v_lshl_or_b32 v7, v6, 12, v2
	v_cndmask_b32_e64 v5, 0, 1, s[0:1]
	v_or_b32_e32 v5, v16, v5
	v_cmp_gt_i32_e64 s[0:1], 1, v6
	ds_read2_b32 v[16:17], v13 offset0:16 offset1:32
	v_lshrrev_b32_e32 v3, 16, v3
	v_cndmask_b32_e64 v5, v7, v5, s[0:1]
	v_and_b32_e32 v7, 7, v5
	v_cmp_lt_i32_e64 s[0:1], 5, v7
	v_cmp_eq_u32_e64 s[2:3], 3, v7
	v_lshrrev_b32_e32 v5, 2, v5
	s_or_b64 s[0:1], s[2:3], s[0:1]
	v_addc_co_u32_e64 v5, s[0:1], 0, v5, s[0:1]
	v_cmp_gt_i32_e64 s[0:1], 31, v6
	s_nop 1
	v_cndmask_b32_e64 v5, v4, v5, s[0:1]
	v_cmp_ne_u32_e64 s[0:1], 0, v2
	s_nop 1
	v_cndmask_b32_e64 v2, 0, 1, s[0:1]
	v_lshl_or_b32 v2, v2, 9, v4
	v_cmp_eq_u32_e64 s[0:1], s12, v6
	s_nop 1
	v_cndmask_b32_e64 v2, v5, v2, s[0:1]
	v_mad_u64_u32 v[6:7], s[0:1], s8, v10, 0
	v_and_or_b32 v5, v3, s13, v2
	v_mov_b32_e32 v2, v7
	v_mad_u64_u32 v[2:3], s[0:1], s9, v10, v[2:3]
	v_mov_b32_e32 v7, v2
	v_bitop3_b32 v2, v12, s4, v11 bitop3:0xc8
	s_waitcnt lgkmcnt(0)
	v_lshrrev_b32_e32 v10, 16, v16
	v_lshl_or_b32 v5, v5, 16, v2
	v_mul_f16_sdwa v2, v29, v10 dst_sel:DWORD dst_unused:UNUSED_PAD src0_sel:WORD_1 src1_sel:DWORD
	v_fma_f16 v2, v29, v16, v2
	v_cvt_f32_f16_e32 v11, v2
	v_lshl_add_u64 v[2:3], v[0:1], 2, v[14:15]
	v_lshl_add_u64 v[0:1], v[6:7], 2, v[2:3]
	global_store_dword v[0:1], v5, off
	v_cvt_f64_f32_e32 v[6:7], v11
	v_mul_f64 v[6:7], v[6:7], s[6:7]
	v_and_or_b32 v5, v7, s10, v6
	v_cmp_ne_u32_e64 s[0:1], 0, v5
	v_lshrrev_b32_e32 v6, 8, v7
	v_bfe_u32 v11, v7, 20, 11
	v_cndmask_b32_e64 v5, 0, 1, s[0:1]
	v_and_or_b32 v5, v6, s11, v5
	v_sub_u32_e32 v12, 0x3f1, v11
	v_or_b32_e32 v6, 0x1000, v5
	v_med3_i32 v12, v12, 0, 13
	v_lshrrev_b32_e32 v14, v12, v6
	v_lshlrev_b32_e32 v12, v12, v14
	v_cmp_ne_u32_e64 s[0:1], v12, v6
	v_add_u32_e32 v11, 0xfffffc10, v11
	v_lshl_or_b32 v12, v11, 12, v5
	v_cndmask_b32_e64 v6, 0, 1, s[0:1]
	v_or_b32_e32 v6, v14, v6
	v_cmp_gt_i32_e64 s[0:1], 1, v11
	s_nop 1
	v_cndmask_b32_e64 v6, v12, v6, s[0:1]
	v_and_b32_e32 v12, 7, v6
	v_cmp_lt_i32_e64 s[0:1], 5, v12
	v_cmp_eq_u32_e64 s[2:3], 3, v12
	v_lshrrev_b32_e32 v6, 2, v6
	s_or_b64 s[0:1], s[2:3], s[0:1]
	v_mul_f16_sdwa v12, v29, v16 dst_sel:DWORD dst_unused:UNUSED_PAD src0_sel:WORD_1 src1_sel:DWORD
	v_addc_co_u32_e64 v6, s[0:1], 0, v6, s[0:1]
	v_fma_f16 v10, v29, v10, -v12
	v_cmp_gt_i32_e64 s[0:1], 31, v11
	v_cvt_f32_f16_e32 v10, v10
	v_and_b32_sdwa v12, v7, s13 dst_sel:DWORD dst_unused:UNUSED_PAD src0_sel:WORD_1 src1_sel:DWORD
	v_cndmask_b32_e64 v6, v4, v6, s[0:1]
	v_cmp_ne_u32_e64 s[0:1], 0, v5
	s_nop 1
	v_cndmask_b32_e64 v5, 0, 1, s[0:1]
	v_lshl_or_b32 v5, v5, 9, v4
	v_cmp_eq_u32_e64 s[0:1], s12, v11
	s_nop 1
	v_cndmask_b32_e64 v5, v6, v5, s[0:1]
	v_cvt_f64_f32_e32 v[6:7], v10
	v_mul_f64 v[6:7], v[6:7], s[6:7]
	v_and_or_b32 v6, v7, s10, v6
	v_cmp_ne_u32_e64 s[0:1], 0, v6
	v_lshrrev_b32_e32 v10, 8, v7
	v_bfe_u32 v11, v7, 20, 11
	v_cndmask_b32_e64 v6, 0, 1, s[0:1]
	v_and_or_b32 v6, v10, s11, v6
	v_sub_u32_e32 v14, 0x3f1, v11
	v_or_b32_e32 v10, 0x1000, v6
	v_med3_i32 v14, v14, 0, 13
	v_lshrrev_b32_e32 v15, v14, v10
	v_lshlrev_b32_e32 v14, v14, v15
	v_cmp_ne_u32_e64 s[0:1], v14, v10
	v_add_u32_e32 v11, 0xfffffc10, v11
	v_lshl_or_b32 v14, v11, 12, v6
	v_cndmask_b32_e64 v10, 0, 1, s[0:1]
	v_or_b32_e32 v10, v15, v10
	v_cmp_gt_i32_e64 s[0:1], 1, v11
	v_lshrrev_b32_e32 v7, 16, v7
	v_bitop3_b32 v5, v12, s4, v5 bitop3:0xc8
	v_cndmask_b32_e64 v10, v14, v10, s[0:1]
	v_and_b32_e32 v14, 7, v10
	v_cmp_lt_i32_e64 s[0:1], 5, v14
	v_cmp_eq_u32_e64 s[2:3], 3, v14
	v_lshrrev_b32_e32 v10, 2, v10
	s_or_b64 s[0:1], s[2:3], s[0:1]
	v_addc_co_u32_e64 v10, s[0:1], 0, v10, s[0:1]
	v_cmp_gt_i32_e64 s[0:1], 31, v11
	s_nop 1
	v_cndmask_b32_e64 v10, v4, v10, s[0:1]
	v_cmp_ne_u32_e64 s[0:1], 0, v6
	s_nop 1
	v_cndmask_b32_e64 v6, 0, 1, s[0:1]
	v_lshl_or_b32 v6, v6, 9, v4
	v_cmp_eq_u32_e64 s[0:1], s12, v11
	s_nop 1
	v_cndmask_b32_e64 v6, v10, v6, s[0:1]
	v_and_or_b32 v14, v7, s13, v6
	v_mad_u64_u32 v[6:7], s[0:1], s8, v28, 0
	v_mov_b32_e32 v10, v7
	v_mad_u64_u32 v[10:11], s[0:1], s9, v28, v[10:11]
	v_mov_b32_e32 v7, v10
	v_lshrrev_b32_e32 v10, 16, v17
	v_mul_f16_sdwa v11, v27, v10 dst_sel:DWORD dst_unused:UNUSED_PAD src0_sel:WORD_1 src1_sel:DWORD
	v_fma_f16 v11, v27, v17, v11
	v_cvt_f32_f16_e32 v11, v11
	v_lshl_or_b32 v5, v14, 16, v5
	v_lshl_add_u64 v[6:7], v[6:7], 2, v[2:3]
	global_store_dword v[6:7], v5, off
	v_cvt_f64_f32_e32 v[6:7], v11
	v_mul_f64 v[6:7], v[6:7], s[6:7]
	v_and_or_b32 v5, v7, s10, v6
	v_cmp_ne_u32_e64 s[0:1], 0, v5
	v_lshrrev_b32_e32 v6, 8, v7
	v_bfe_u32 v11, v7, 20, 11
	v_cndmask_b32_e64 v5, 0, 1, s[0:1]
	v_and_or_b32 v5, v6, s11, v5
	v_sub_u32_e32 v12, 0x3f1, v11
	v_or_b32_e32 v6, 0x1000, v5
	v_med3_i32 v12, v12, 0, 13
	v_lshrrev_b32_e32 v14, v12, v6
	v_lshlrev_b32_e32 v12, v12, v14
	v_cmp_ne_u32_e64 s[0:1], v12, v6
	v_add_u32_e32 v11, 0xfffffc10, v11
	v_lshl_or_b32 v12, v11, 12, v5
	v_cndmask_b32_e64 v6, 0, 1, s[0:1]
	v_or_b32_e32 v6, v14, v6
	v_cmp_gt_i32_e64 s[0:1], 1, v11
	s_nop 1
	v_cndmask_b32_e64 v6, v12, v6, s[0:1]
	v_and_b32_e32 v12, 7, v6
	v_cmp_lt_i32_e64 s[0:1], 5, v12
	v_cmp_eq_u32_e64 s[2:3], 3, v12
	v_lshrrev_b32_e32 v6, 2, v6
	s_or_b64 s[0:1], s[2:3], s[0:1]
	v_mul_f16_sdwa v12, v27, v17 dst_sel:DWORD dst_unused:UNUSED_PAD src0_sel:WORD_1 src1_sel:DWORD
	v_addc_co_u32_e64 v6, s[0:1], 0, v6, s[0:1]
	v_fma_f16 v10, v27, v10, -v12
	v_cmp_gt_i32_e64 s[0:1], 31, v11
	v_cvt_f32_f16_e32 v10, v10
	v_and_b32_sdwa v12, v7, s13 dst_sel:DWORD dst_unused:UNUSED_PAD src0_sel:WORD_1 src1_sel:DWORD
	v_cndmask_b32_e64 v6, v4, v6, s[0:1]
	v_cmp_ne_u32_e64 s[0:1], 0, v5
	s_nop 1
	v_cndmask_b32_e64 v5, 0, 1, s[0:1]
	v_lshl_or_b32 v5, v5, 9, v4
	v_cmp_eq_u32_e64 s[0:1], s12, v11
	s_nop 1
	v_cndmask_b32_e64 v5, v6, v5, s[0:1]
	v_cvt_f64_f32_e32 v[6:7], v10
	v_mul_f64 v[6:7], v[6:7], s[6:7]
	v_and_or_b32 v6, v7, s10, v6
	v_cmp_ne_u32_e64 s[0:1], 0, v6
	v_lshrrev_b32_e32 v10, 8, v7
	v_bfe_u32 v11, v7, 20, 11
	v_cndmask_b32_e64 v6, 0, 1, s[0:1]
	v_and_or_b32 v6, v10, s11, v6
	v_sub_u32_e32 v14, 0x3f1, v11
	v_or_b32_e32 v10, 0x1000, v6
	v_med3_i32 v14, v14, 0, 13
	v_lshrrev_b32_e32 v15, v14, v10
	v_lshlrev_b32_e32 v14, v14, v15
	v_cmp_ne_u32_e64 s[0:1], v14, v10
	v_add_u32_e32 v11, 0xfffffc10, v11
	v_lshl_or_b32 v14, v11, 12, v6
	v_cndmask_b32_e64 v10, 0, 1, s[0:1]
	v_or_b32_e32 v10, v15, v10
	v_cmp_gt_i32_e64 s[0:1], 1, v11
	v_lshrrev_b32_e32 v7, 16, v7
	v_bitop3_b32 v5, v12, s4, v5 bitop3:0xc8
	v_cndmask_b32_e64 v10, v14, v10, s[0:1]
	v_and_b32_e32 v14, 7, v10
	v_cmp_lt_i32_e64 s[0:1], 5, v14
	v_cmp_eq_u32_e64 s[2:3], 3, v14
	v_lshrrev_b32_e32 v10, 2, v10
	s_or_b64 s[0:1], s[2:3], s[0:1]
	v_addc_co_u32_e64 v10, s[0:1], 0, v10, s[0:1]
	v_cmp_gt_i32_e64 s[0:1], 31, v11
	ds_read2_b32 v[14:15], v13 offset0:48 offset1:64
	s_nop 0
	v_cndmask_b32_e64 v10, v4, v10, s[0:1]
	v_cmp_ne_u32_e64 s[0:1], 0, v6
	s_nop 1
	v_cndmask_b32_e64 v6, 0, 1, s[0:1]
	v_lshl_or_b32 v6, v6, 9, v4
	v_cmp_eq_u32_e64 s[0:1], s12, v11
	s_nop 1
	v_cndmask_b32_e64 v6, v10, v6, s[0:1]
	v_and_or_b32 v16, v7, s13, v6
	v_mad_u64_u32 v[6:7], s[0:1], s8, v26, 0
	v_mov_b32_e32 v10, v7
	v_mad_u64_u32 v[10:11], s[0:1], s9, v26, v[10:11]
	v_mov_b32_e32 v7, v10
	s_waitcnt lgkmcnt(0)
	v_lshrrev_b32_e32 v10, 16, v14
	v_mul_f16_sdwa v11, v25, v10 dst_sel:DWORD dst_unused:UNUSED_PAD src0_sel:WORD_1 src1_sel:DWORD
	v_fma_f16 v11, v25, v14, v11
	v_cvt_f32_f16_e32 v11, v11
	v_lshl_or_b32 v5, v16, 16, v5
	v_lshl_add_u64 v[6:7], v[6:7], 2, v[2:3]
	global_store_dword v[6:7], v5, off
	v_cvt_f64_f32_e32 v[6:7], v11
	v_mul_f64 v[6:7], v[6:7], s[6:7]
	v_and_or_b32 v5, v7, s10, v6
	v_cmp_ne_u32_e64 s[0:1], 0, v5
	v_lshrrev_b32_e32 v6, 8, v7
	v_bfe_u32 v11, v7, 20, 11
	v_cndmask_b32_e64 v5, 0, 1, s[0:1]
	v_and_or_b32 v5, v6, s11, v5
	v_sub_u32_e32 v12, 0x3f1, v11
	v_or_b32_e32 v6, 0x1000, v5
	v_med3_i32 v12, v12, 0, 13
	v_lshrrev_b32_e32 v16, v12, v6
	v_lshlrev_b32_e32 v12, v12, v16
	v_cmp_ne_u32_e64 s[0:1], v12, v6
	v_add_u32_e32 v11, 0xfffffc10, v11
	v_lshl_or_b32 v12, v11, 12, v5
	v_cndmask_b32_e64 v6, 0, 1, s[0:1]
	v_or_b32_e32 v6, v16, v6
	v_cmp_gt_i32_e64 s[0:1], 1, v11
	s_nop 1
	v_cndmask_b32_e64 v6, v12, v6, s[0:1]
	v_and_b32_e32 v12, 7, v6
	v_cmp_lt_i32_e64 s[0:1], 5, v12
	v_cmp_eq_u32_e64 s[2:3], 3, v12
	v_lshrrev_b32_e32 v6, 2, v6
	s_or_b64 s[0:1], s[2:3], s[0:1]
	v_mul_f16_sdwa v12, v25, v14 dst_sel:DWORD dst_unused:UNUSED_PAD src0_sel:WORD_1 src1_sel:DWORD
	v_addc_co_u32_e64 v6, s[0:1], 0, v6, s[0:1]
	v_fma_f16 v10, v25, v10, -v12
	v_cmp_gt_i32_e64 s[0:1], 31, v11
	v_cvt_f32_f16_e32 v10, v10
	v_and_b32_sdwa v12, v7, s13 dst_sel:DWORD dst_unused:UNUSED_PAD src0_sel:WORD_1 src1_sel:DWORD
	v_cndmask_b32_e64 v6, v4, v6, s[0:1]
	v_cmp_ne_u32_e64 s[0:1], 0, v5
	s_nop 1
	v_cndmask_b32_e64 v5, 0, 1, s[0:1]
	v_lshl_or_b32 v5, v5, 9, v4
	v_cmp_eq_u32_e64 s[0:1], s12, v11
	s_nop 1
	v_cndmask_b32_e64 v5, v6, v5, s[0:1]
	v_cvt_f64_f32_e32 v[6:7], v10
	v_mul_f64 v[6:7], v[6:7], s[6:7]
	v_and_or_b32 v6, v7, s10, v6
	v_cmp_ne_u32_e64 s[0:1], 0, v6
	v_lshrrev_b32_e32 v10, 8, v7
	v_bfe_u32 v11, v7, 20, 11
	v_cndmask_b32_e64 v6, 0, 1, s[0:1]
	v_and_or_b32 v6, v10, s11, v6
	v_sub_u32_e32 v14, 0x3f1, v11
	v_or_b32_e32 v10, 0x1000, v6
	v_med3_i32 v14, v14, 0, 13
	v_lshrrev_b32_e32 v16, v14, v10
	v_lshlrev_b32_e32 v14, v14, v16
	v_cmp_ne_u32_e64 s[0:1], v14, v10
	v_add_u32_e32 v11, 0xfffffc10, v11
	v_lshl_or_b32 v14, v11, 12, v6
	v_cndmask_b32_e64 v10, 0, 1, s[0:1]
	v_or_b32_e32 v10, v16, v10
	v_cmp_gt_i32_e64 s[0:1], 1, v11
	v_lshrrev_b32_e32 v7, 16, v7
	v_bitop3_b32 v5, v12, s4, v5 bitop3:0xc8
	v_cndmask_b32_e64 v10, v14, v10, s[0:1]
	v_and_b32_e32 v14, 7, v10
	v_cmp_lt_i32_e64 s[0:1], 5, v14
	v_cmp_eq_u32_e64 s[2:3], 3, v14
	v_lshrrev_b32_e32 v10, 2, v10
	s_or_b64 s[0:1], s[2:3], s[0:1]
	v_addc_co_u32_e64 v10, s[0:1], 0, v10, s[0:1]
	v_cmp_gt_i32_e64 s[0:1], 31, v11
	s_nop 1
	v_cndmask_b32_e64 v10, v4, v10, s[0:1]
	v_cmp_ne_u32_e64 s[0:1], 0, v6
	s_nop 1
	v_cndmask_b32_e64 v6, 0, 1, s[0:1]
	v_lshl_or_b32 v6, v6, 9, v4
	v_cmp_eq_u32_e64 s[0:1], s12, v11
	s_nop 1
	v_cndmask_b32_e64 v6, v10, v6, s[0:1]
	v_and_or_b32 v14, v7, s13, v6
	v_mad_u64_u32 v[6:7], s[0:1], s8, v24, 0
	v_mov_b32_e32 v10, v7
	v_mad_u64_u32 v[10:11], s[0:1], s9, v24, v[10:11]
	v_mov_b32_e32 v7, v10
	v_lshrrev_b32_e32 v10, 16, v15
	v_mul_f16_sdwa v11, v23, v10 dst_sel:DWORD dst_unused:UNUSED_PAD src0_sel:WORD_1 src1_sel:DWORD
	v_fma_f16 v11, v23, v15, v11
	v_cvt_f32_f16_e32 v11, v11
	v_lshl_or_b32 v5, v14, 16, v5
	v_lshl_add_u64 v[6:7], v[6:7], 2, v[2:3]
	global_store_dword v[6:7], v5, off
	v_cvt_f64_f32_e32 v[6:7], v11
	v_mul_f64 v[6:7], v[6:7], s[6:7]
	v_and_or_b32 v5, v7, s10, v6
	v_cmp_ne_u32_e64 s[0:1], 0, v5
	v_lshrrev_b32_e32 v6, 8, v7
	v_bfe_u32 v11, v7, 20, 11
	v_cndmask_b32_e64 v5, 0, 1, s[0:1]
	v_and_or_b32 v5, v6, s11, v5
	v_sub_u32_e32 v12, 0x3f1, v11
	v_or_b32_e32 v6, 0x1000, v5
	v_med3_i32 v12, v12, 0, 13
	v_lshrrev_b32_e32 v14, v12, v6
	v_lshlrev_b32_e32 v12, v12, v14
	v_cmp_ne_u32_e64 s[0:1], v12, v6
	v_add_u32_e32 v11, 0xfffffc10, v11
	v_lshl_or_b32 v12, v11, 12, v5
	v_cndmask_b32_e64 v6, 0, 1, s[0:1]
	v_or_b32_e32 v6, v14, v6
	v_cmp_gt_i32_e64 s[0:1], 1, v11
	s_nop 1
	v_cndmask_b32_e64 v6, v12, v6, s[0:1]
	v_and_b32_e32 v12, 7, v6
	v_cmp_lt_i32_e64 s[0:1], 5, v12
	v_cmp_eq_u32_e64 s[2:3], 3, v12
	v_lshrrev_b32_e32 v6, 2, v6
	s_or_b64 s[0:1], s[2:3], s[0:1]
	v_mul_f16_sdwa v12, v23, v15 dst_sel:DWORD dst_unused:UNUSED_PAD src0_sel:WORD_1 src1_sel:DWORD
	v_addc_co_u32_e64 v6, s[0:1], 0, v6, s[0:1]
	v_fma_f16 v10, v23, v10, -v12
	v_cmp_gt_i32_e64 s[0:1], 31, v11
	v_cvt_f32_f16_e32 v10, v10
	v_and_b32_sdwa v12, v7, s13 dst_sel:DWORD dst_unused:UNUSED_PAD src0_sel:WORD_1 src1_sel:DWORD
	v_cndmask_b32_e64 v6, v4, v6, s[0:1]
	v_cmp_ne_u32_e64 s[0:1], 0, v5
	s_nop 1
	v_cndmask_b32_e64 v5, 0, 1, s[0:1]
	v_lshl_or_b32 v5, v5, 9, v4
	v_cmp_eq_u32_e64 s[0:1], s12, v11
	s_nop 1
	v_cndmask_b32_e64 v5, v6, v5, s[0:1]
	v_cvt_f64_f32_e32 v[6:7], v10
	v_mul_f64 v[6:7], v[6:7], s[6:7]
	v_and_or_b32 v6, v7, s10, v6
	v_cmp_ne_u32_e64 s[0:1], 0, v6
	v_lshrrev_b32_e32 v10, 8, v7
	v_bfe_u32 v11, v7, 20, 11
	v_cndmask_b32_e64 v6, 0, 1, s[0:1]
	v_and_or_b32 v6, v10, s11, v6
	v_sub_u32_e32 v14, 0x3f1, v11
	v_or_b32_e32 v10, 0x1000, v6
	v_med3_i32 v14, v14, 0, 13
	v_lshrrev_b32_e32 v15, v14, v10
	v_lshlrev_b32_e32 v14, v14, v15
	v_cmp_ne_u32_e64 s[0:1], v14, v10
	v_add_u32_e32 v11, 0xfffffc10, v11
	v_lshl_or_b32 v14, v11, 12, v6
	v_cndmask_b32_e64 v10, 0, 1, s[0:1]
	v_or_b32_e32 v10, v15, v10
	v_cmp_gt_i32_e64 s[0:1], 1, v11
	v_lshrrev_b32_e32 v7, 16, v7
	v_bitop3_b32 v5, v12, s4, v5 bitop3:0xc8
	v_cndmask_b32_e64 v10, v14, v10, s[0:1]
	v_and_b32_e32 v14, 7, v10
	v_cmp_lt_i32_e64 s[0:1], 5, v14
	v_cmp_eq_u32_e64 s[2:3], 3, v14
	v_lshrrev_b32_e32 v10, 2, v10
	s_or_b64 s[0:1], s[2:3], s[0:1]
	v_addc_co_u32_e64 v10, s[0:1], 0, v10, s[0:1]
	v_cmp_gt_i32_e64 s[0:1], 31, v11
	s_nop 1
	v_cndmask_b32_e64 v10, v4, v10, s[0:1]
	v_cmp_ne_u32_e64 s[0:1], 0, v6
	s_nop 1
	v_cndmask_b32_e64 v6, 0, 1, s[0:1]
	v_lshl_or_b32 v6, v6, 9, v4
	v_cmp_eq_u32_e64 s[0:1], s12, v11
	s_nop 1
	v_cndmask_b32_e64 v6, v10, v6, s[0:1]
	v_and_or_b32 v14, v7, s13, v6
	v_mad_u64_u32 v[6:7], s[0:1], s8, v22, 0
	v_mov_b32_e32 v10, v7
	v_mad_u64_u32 v[10:11], s[0:1], s9, v22, v[10:11]
	v_mov_b32_e32 v7, v10
	v_lshl_or_b32 v5, v14, 16, v5
	v_lshl_add_u64 v[2:3], v[6:7], 2, v[2:3]
	global_store_dword v[2:3], v5, off
	s_and_b64 exec, exec, vcc
	s_cbranch_execz .LBB0_15
; %bb.14:
	global_load_dword v5, v[8:9], off offset:40
	global_load_dword v12, v[8:9], off offset:104
	ds_read2_b32 v[2:3], v13 offset0:10 offset1:26
	v_mad_u64_u32 v[0:1], s[0:1], s8, 40, v[0:1]
	global_load_dword v14, v[8:9], off offset:168
	global_load_dword v15, v[8:9], off offset:232
	;; [unrolled: 1-line block ×3, first 2 shown]
	v_mov_b32_e32 v6, v1
	v_mad_u64_u32 v[6:7], s[0:1], s9, 40, v[6:7]
	s_waitcnt lgkmcnt(0)
	v_lshrrev_b32_e32 v1, 16, v2
	v_lshrrev_b32_e32 v17, 16, v3
	s_mov_b32 s14, 0xffff
	s_waitcnt vmcnt(4)
	v_mul_f16_sdwa v7, v1, v5 dst_sel:DWORD dst_unused:UNUSED_PAD src0_sel:DWORD src1_sel:WORD_1
	v_mul_f16_sdwa v8, v2, v5 dst_sel:DWORD dst_unused:UNUSED_PAD src0_sel:DWORD src1_sel:WORD_1
	v_fma_f16 v2, v2, v5, v7
	s_waitcnt vmcnt(3)
	v_mul_f16_sdwa v9, v17, v12 dst_sel:DWORD dst_unused:UNUSED_PAD src0_sel:DWORD src1_sel:WORD_1
	v_fma_f16 v1, v5, v1, -v8
	v_cvt_f32_f16_e32 v2, v2
	v_fma_f16 v5, v3, v12, v9
	v_cvt_f32_f16_e32 v8, v1
	v_cvt_f32_f16_e32 v5, v5
	v_mov_b32_e32 v1, v6
	v_cvt_f64_f32_e32 v[6:7], v2
	v_cvt_f64_f32_e32 v[8:9], v8
	v_mul_f64 v[6:7], v[6:7], s[6:7]
	v_cvt_f64_f32_e32 v[10:11], v5
	v_mul_f64 v[8:9], v[8:9], s[6:7]
	v_and_or_b32 v2, v7, s10, v6
	v_mul_f64 v[10:11], v[10:11], s[6:7]
	v_and_or_b32 v8, v9, s10, v8
	v_cmp_ne_u32_e32 vcc, 0, v2
	v_and_or_b32 v10, v11, s10, v10
	v_lshrrev_b32_e32 v5, 8, v7
	v_cndmask_b32_e64 v2, 0, 1, vcc
	v_cmp_ne_u32_e32 vcc, 0, v8
	v_bfe_u32 v6, v7, 20, 11
	v_lshrrev_b32_e32 v18, 8, v9
	v_cndmask_b32_e64 v8, 0, 1, vcc
	v_cmp_ne_u32_e32 vcc, 0, v10
	v_bfe_u32 v19, v9, 20, 11
	v_lshrrev_b32_e32 v20, 8, v11
	v_sub_u32_e32 v21, 0x3f1, v6
	v_cndmask_b32_e64 v10, 0, 1, vcc
	v_and_or_b32 v2, v5, s11, v2
	v_sub_u32_e32 v22, 0x3f1, v19
	v_med3_i32 v5, v21, 0, 13
	v_and_or_b32 v8, v18, s11, v8
	v_and_or_b32 v10, v20, s11, v10
	v_or_b32_e32 v20, 0x1000, v2
	v_add_u32_e32 v6, 0xfffffc10, v6
	v_med3_i32 v18, v22, 0, 13
	v_cmp_ne_u32_e32 vcc, 0, v2
	v_or_b32_e32 v22, 0x1000, v8
	v_lshrrev_b32_e32 v24, v5, v20
	v_add_u32_e32 v19, 0xfffffc10, v19
	v_lshl_or_b32 v21, v6, 12, v2
	v_cndmask_b32_e64 v2, 0, 1, vcc
	v_cmp_ne_u32_e32 vcc, 0, v8
	v_lshrrev_b32_e32 v25, v18, v22
	v_lshlrev_b32_e32 v5, v5, v24
	v_lshl_or_b32 v23, v19, 12, v8
	v_cndmask_b32_e64 v8, 0, 1, vcc
	v_lshlrev_b32_e32 v18, v18, v25
	v_cmp_ne_u32_e32 vcc, v5, v20
	v_lshl_or_b32 v2, v2, 9, v4
	v_lshl_or_b32 v8, v8, 9, v4
	v_cndmask_b32_e64 v5, 0, 1, vcc
	v_cmp_ne_u32_e32 vcc, v18, v22
	v_or_b32_e32 v5, v24, v5
	v_and_b32_sdwa v7, v7, s13 dst_sel:DWORD dst_unused:UNUSED_PAD src0_sel:WORD_1 src1_sel:DWORD
	v_cndmask_b32_e64 v18, 0, 1, vcc
	v_cmp_gt_i32_e32 vcc, 1, v6
	v_or_b32_e32 v18, v25, v18
	v_lshrrev_b32_e32 v9, 16, v9
	v_cndmask_b32_e32 v5, v21, v5, vcc
	v_cmp_gt_i32_e32 vcc, 1, v19
	v_and_b32_e32 v20, 7, v5
	v_cmp_eq_u32_e64 s[0:1], 3, v20
	v_cndmask_b32_e32 v18, v23, v18, vcc
	v_cmp_lt_i32_e32 vcc, 5, v20
	v_lshrrev_b32_e32 v5, 2, v5
	v_and_b32_e32 v21, 7, v18
	s_or_b64 vcc, s[0:1], vcc
	v_cmp_lt_i32_e64 s[2:3], 5, v21
	v_cmp_eq_u32_e64 s[4:5], 3, v21
	v_addc_co_u32_e32 v5, vcc, 0, v5, vcc
	v_lshrrev_b32_e32 v18, 2, v18
	s_or_b64 vcc, s[4:5], s[2:3]
	v_addc_co_u32_e32 v18, vcc, 0, v18, vcc
	v_cmp_gt_i32_e32 vcc, 31, v6
	v_mul_f16_sdwa v3, v3, v12 dst_sel:DWORD dst_unused:UNUSED_PAD src0_sel:DWORD src1_sel:WORD_1
	v_fma_f16 v3, v12, v17, -v3
	v_cndmask_b32_e32 v5, v4, v5, vcc
	v_cmp_gt_i32_e32 vcc, 31, v19
	v_cvt_f32_f16_e32 v3, v3
	s_lshl_b64 s[2:3], s[8:9], 6
	v_cndmask_b32_e32 v18, v4, v18, vcc
	v_cmp_eq_u32_e32 vcc, s12, v6
	s_nop 1
	v_cndmask_b32_e32 v2, v5, v2, vcc
	v_cmp_eq_u32_e32 vcc, s12, v19
	v_bitop3_b32 v2, v7, s14, v2 bitop3:0xc8
	s_nop 0
	v_cndmask_b32_e32 v5, v18, v8, vcc
	v_and_or_b32 v5, v9, s13, v5
	v_lshl_or_b32 v2, v5, 16, v2
	v_bfe_u32 v5, v11, 20, 11
	v_sub_u32_e32 v6, 0x3f1, v5
	global_store_dword v[0:1], v2, off
	v_or_b32_e32 v2, 0x1000, v10
	v_med3_i32 v6, v6, 0, 13
	v_lshrrev_b32_e32 v7, v6, v2
	v_lshlrev_b32_e32 v6, v6, v7
	v_cmp_ne_u32_e32 vcc, v6, v2
	v_add_u32_e32 v5, 0xfffffc10, v5
	v_lshl_or_b32 v6, v5, 12, v10
	v_cndmask_b32_e64 v2, 0, 1, vcc
	v_or_b32_e32 v2, v7, v2
	v_cmp_gt_i32_e32 vcc, 1, v5
	v_and_b32_sdwa v8, v11, s13 dst_sel:DWORD dst_unused:UNUSED_PAD src0_sel:WORD_1 src1_sel:DWORD
	v_lshl_add_u64 v[0:1], v[0:1], 0, s[2:3]
	v_cndmask_b32_e32 v2, v6, v2, vcc
	v_and_b32_e32 v6, 7, v2
	v_cmp_lt_i32_e32 vcc, 5, v6
	v_cmp_eq_u32_e64 s[0:1], 3, v6
	v_lshrrev_b32_e32 v2, 2, v2
	s_or_b64 vcc, s[0:1], vcc
	v_addc_co_u32_e32 v2, vcc, 0, v2, vcc
	v_cmp_gt_i32_e32 vcc, 31, v5
	s_nop 1
	v_cndmask_b32_e32 v2, v4, v2, vcc
	v_cmp_ne_u32_e32 vcc, 0, v10
	s_nop 1
	v_cndmask_b32_e64 v6, 0, 1, vcc
	v_lshl_or_b32 v6, v6, 9, v4
	v_cmp_eq_u32_e32 vcc, s12, v5
	s_nop 1
	v_cndmask_b32_e32 v5, v2, v6, vcc
	v_cvt_f64_f32_e32 v[2:3], v3
	v_mul_f64 v[2:3], v[2:3], s[6:7]
	v_and_or_b32 v2, v3, s10, v2
	v_cmp_ne_u32_e32 vcc, 0, v2
	v_lshrrev_b32_e32 v6, 8, v3
	v_bfe_u32 v7, v3, 20, 11
	v_cndmask_b32_e64 v2, 0, 1, vcc
	v_and_or_b32 v2, v6, s11, v2
	v_sub_u32_e32 v9, 0x3f1, v7
	v_or_b32_e32 v6, 0x1000, v2
	v_med3_i32 v9, v9, 0, 13
	v_lshrrev_b32_e32 v10, v9, v6
	v_lshlrev_b32_e32 v9, v9, v10
	v_cmp_ne_u32_e32 vcc, v9, v6
	v_add_u32_e32 v7, 0xfffffc10, v7
	v_lshl_or_b32 v9, v7, 12, v2
	v_cndmask_b32_e64 v6, 0, 1, vcc
	v_or_b32_e32 v6, v10, v6
	v_cmp_gt_i32_e32 vcc, 1, v7
	v_lshrrev_b32_e32 v3, 16, v3
	s_nop 0
	v_cndmask_b32_e32 v6, v9, v6, vcc
	v_and_b32_e32 v9, 7, v6
	v_cmp_lt_i32_e32 vcc, 5, v9
	v_cmp_eq_u32_e64 s[0:1], 3, v9
	v_lshrrev_b32_e32 v6, 2, v6
	s_or_b64 vcc, s[0:1], vcc
	v_addc_co_u32_e32 v6, vcc, 0, v6, vcc
	v_cmp_gt_i32_e32 vcc, 31, v7
	s_nop 1
	v_cndmask_b32_e32 v6, v4, v6, vcc
	v_cmp_ne_u32_e32 vcc, 0, v2
	s_nop 1
	v_cndmask_b32_e64 v2, 0, 1, vcc
	v_lshl_or_b32 v2, v2, 9, v4
	v_cmp_eq_u32_e32 vcc, s12, v7
	s_nop 1
	v_cndmask_b32_e32 v2, v6, v2, vcc
	ds_read2_b32 v[6:7], v13 offset0:42 offset1:58
	v_and_or_b32 v2, v3, s13, v2
	v_bitop3_b32 v3, v8, s14, v5 bitop3:0xc8
	v_lshl_or_b32 v2, v2, 16, v3
	global_store_dword v[0:1], v2, off
	s_waitcnt lgkmcnt(0)
	v_lshrrev_b32_e32 v5, 16, v6
	s_waitcnt vmcnt(4)
	v_mul_f16_sdwa v3, v5, v14 dst_sel:DWORD dst_unused:UNUSED_PAD src0_sel:DWORD src1_sel:WORD_1
	v_fma_f16 v3, v6, v14, v3
	v_cvt_f32_f16_e32 v3, v3
	v_mul_f16_sdwa v6, v6, v14 dst_sel:DWORD dst_unused:UNUSED_PAD src0_sel:DWORD src1_sel:WORD_1
	v_fma_f16 v5, v14, v5, -v6
	v_cvt_f32_f16_e32 v5, v5
	v_cvt_f64_f32_e32 v[2:3], v3
	v_mul_f64 v[2:3], v[2:3], s[6:7]
	v_and_or_b32 v2, v3, s10, v2
	v_cmp_ne_u32_e32 vcc, 0, v2
	v_lshrrev_b32_e32 v8, 8, v3
	v_bfe_u32 v9, v3, 20, 11
	v_cndmask_b32_e64 v2, 0, 1, vcc
	v_and_or_b32 v2, v8, s11, v2
	v_sub_u32_e32 v10, 0x3f1, v9
	v_or_b32_e32 v8, 0x1000, v2
	v_med3_i32 v10, v10, 0, 13
	v_lshrrev_b32_e32 v11, v10, v8
	v_lshlrev_b32_e32 v10, v10, v11
	v_cmp_ne_u32_e32 vcc, v10, v8
	v_add_u32_e32 v9, 0xfffffc10, v9
	v_lshl_or_b32 v10, v9, 12, v2
	v_cndmask_b32_e64 v8, 0, 1, vcc
	v_or_b32_e32 v8, v11, v8
	v_cmp_gt_i32_e32 vcc, 1, v9
	v_lshl_add_u64 v[0:1], v[0:1], 0, s[2:3]
	s_nop 0
	v_cndmask_b32_e32 v8, v10, v8, vcc
	v_and_b32_e32 v10, 7, v8
	v_cmp_lt_i32_e32 vcc, 5, v10
	v_cmp_eq_u32_e64 s[0:1], 3, v10
	v_lshrrev_b32_e32 v8, 2, v8
	s_or_b64 vcc, s[0:1], vcc
	v_addc_co_u32_e32 v8, vcc, 0, v8, vcc
	v_cmp_gt_i32_e32 vcc, 31, v9
	s_nop 1
	v_cndmask_b32_e32 v8, v4, v8, vcc
	v_cmp_ne_u32_e32 vcc, 0, v2
	s_nop 1
	v_cndmask_b32_e64 v2, 0, 1, vcc
	v_lshl_or_b32 v2, v2, 9, v4
	v_cmp_eq_u32_e32 vcc, s12, v9
	s_nop 1
	v_cndmask_b32_e32 v6, v8, v2, vcc
	v_and_b32_sdwa v8, v3, s13 dst_sel:DWORD dst_unused:UNUSED_PAD src0_sel:WORD_1 src1_sel:DWORD
	v_cvt_f64_f32_e32 v[2:3], v5
	v_mul_f64 v[2:3], v[2:3], s[6:7]
	v_and_or_b32 v2, v3, s10, v2
	v_cmp_ne_u32_e32 vcc, 0, v2
	v_lshrrev_b32_e32 v5, 8, v3
	v_bfe_u32 v9, v3, 20, 11
	v_cndmask_b32_e64 v2, 0, 1, vcc
	v_and_or_b32 v2, v5, s11, v2
	v_sub_u32_e32 v10, 0x3f1, v9
	v_or_b32_e32 v5, 0x1000, v2
	v_med3_i32 v10, v10, 0, 13
	v_lshrrev_b32_e32 v11, v10, v5
	v_lshlrev_b32_e32 v10, v10, v11
	v_cmp_ne_u32_e32 vcc, v10, v5
	v_add_u32_e32 v9, 0xfffffc10, v9
	v_lshl_or_b32 v10, v9, 12, v2
	v_cndmask_b32_e64 v5, 0, 1, vcc
	v_or_b32_e32 v5, v11, v5
	v_cmp_gt_i32_e32 vcc, 1, v9
	v_lshrrev_b32_e32 v3, 16, v3
	s_nop 0
	v_cndmask_b32_e32 v5, v10, v5, vcc
	v_and_b32_e32 v10, 7, v5
	v_cmp_lt_i32_e32 vcc, 5, v10
	v_cmp_eq_u32_e64 s[0:1], 3, v10
	v_lshrrev_b32_e32 v5, 2, v5
	s_or_b64 vcc, s[0:1], vcc
	v_addc_co_u32_e32 v5, vcc, 0, v5, vcc
	v_cmp_gt_i32_e32 vcc, 31, v9
	s_nop 1
	v_cndmask_b32_e32 v5, v4, v5, vcc
	v_cmp_ne_u32_e32 vcc, 0, v2
	s_nop 1
	v_cndmask_b32_e64 v2, 0, 1, vcc
	v_lshl_or_b32 v2, v2, 9, v4
	v_cmp_eq_u32_e32 vcc, s12, v9
	s_nop 1
	v_cndmask_b32_e32 v2, v5, v2, vcc
	v_lshrrev_b32_e32 v5, 16, v7
	v_and_or_b32 v2, v3, s13, v2
	v_bitop3_b32 v3, v8, s14, v6 bitop3:0xc8
	s_waitcnt vmcnt(3)
	v_mul_f16_sdwa v6, v5, v15 dst_sel:DWORD dst_unused:UNUSED_PAD src0_sel:DWORD src1_sel:WORD_1
	v_fma_f16 v6, v7, v15, v6
	v_cvt_f32_f16_e32 v6, v6
	v_lshl_or_b32 v2, v2, 16, v3
	global_store_dword v[0:1], v2, off
	v_mul_f16_sdwa v7, v7, v15 dst_sel:DWORD dst_unused:UNUSED_PAD src0_sel:DWORD src1_sel:WORD_1
	v_cvt_f64_f32_e32 v[2:3], v6
	v_mul_f64 v[2:3], v[2:3], s[6:7]
	v_and_or_b32 v2, v3, s10, v2
	v_cmp_ne_u32_e32 vcc, 0, v2
	v_lshrrev_b32_e32 v6, 8, v3
	v_bfe_u32 v8, v3, 20, 11
	v_cndmask_b32_e64 v2, 0, 1, vcc
	v_and_or_b32 v2, v6, s11, v2
	v_sub_u32_e32 v9, 0x3f1, v8
	v_or_b32_e32 v6, 0x1000, v2
	v_med3_i32 v9, v9, 0, 13
	v_lshrrev_b32_e32 v10, v9, v6
	v_lshlrev_b32_e32 v9, v9, v10
	v_cmp_ne_u32_e32 vcc, v9, v6
	v_add_u32_e32 v8, 0xfffffc10, v8
	v_lshl_or_b32 v9, v8, 12, v2
	v_cndmask_b32_e64 v6, 0, 1, vcc
	v_or_b32_e32 v6, v10, v6
	v_cmp_gt_i32_e32 vcc, 1, v8
	v_fma_f16 v5, v15, v5, -v7
	v_cvt_f32_f16_e32 v5, v5
	v_cndmask_b32_e32 v6, v9, v6, vcc
	v_and_b32_e32 v9, 7, v6
	v_cmp_lt_i32_e32 vcc, 5, v9
	v_cmp_eq_u32_e64 s[0:1], 3, v9
	v_lshrrev_b32_e32 v6, 2, v6
	s_or_b64 vcc, s[0:1], vcc
	v_addc_co_u32_e32 v6, vcc, 0, v6, vcc
	v_cmp_gt_i32_e32 vcc, 31, v8
	v_and_b32_sdwa v7, v3, s13 dst_sel:DWORD dst_unused:UNUSED_PAD src0_sel:WORD_1 src1_sel:DWORD
	v_lshl_add_u64 v[0:1], v[0:1], 0, s[2:3]
	v_cndmask_b32_e32 v6, v4, v6, vcc
	v_cmp_ne_u32_e32 vcc, 0, v2
	s_nop 1
	v_cndmask_b32_e64 v2, 0, 1, vcc
	v_lshl_or_b32 v2, v2, 9, v4
	v_cmp_eq_u32_e32 vcc, s12, v8
	s_nop 1
	v_cndmask_b32_e32 v6, v6, v2, vcc
	v_cvt_f64_f32_e32 v[2:3], v5
	v_mul_f64 v[2:3], v[2:3], s[6:7]
	v_and_or_b32 v2, v3, s10, v2
	v_cmp_ne_u32_e32 vcc, 0, v2
	v_lshrrev_b32_e32 v5, 8, v3
	v_bfe_u32 v8, v3, 20, 11
	v_cndmask_b32_e64 v2, 0, 1, vcc
	v_and_or_b32 v2, v5, s11, v2
	v_sub_u32_e32 v9, 0x3f1, v8
	v_or_b32_e32 v5, 0x1000, v2
	v_med3_i32 v9, v9, 0, 13
	v_lshrrev_b32_e32 v10, v9, v5
	v_lshlrev_b32_e32 v9, v9, v10
	v_cmp_ne_u32_e32 vcc, v9, v5
	v_add_u32_e32 v8, 0xfffffc10, v8
	v_lshl_or_b32 v9, v8, 12, v2
	v_cndmask_b32_e64 v5, 0, 1, vcc
	v_or_b32_e32 v5, v10, v5
	v_cmp_gt_i32_e32 vcc, 1, v8
	v_lshrrev_b32_e32 v3, 16, v3
	s_nop 0
	v_cndmask_b32_e32 v5, v9, v5, vcc
	v_and_b32_e32 v9, 7, v5
	v_cmp_lt_i32_e32 vcc, 5, v9
	v_cmp_eq_u32_e64 s[0:1], 3, v9
	v_lshrrev_b32_e32 v5, 2, v5
	s_or_b64 vcc, s[0:1], vcc
	v_addc_co_u32_e32 v5, vcc, 0, v5, vcc
	ds_read_b32 v9, v13 offset:296
	v_cmp_gt_i32_e32 vcc, 31, v8
	s_nop 1
	v_cndmask_b32_e32 v5, v4, v5, vcc
	v_cmp_ne_u32_e32 vcc, 0, v2
	s_nop 1
	v_cndmask_b32_e64 v2, 0, 1, vcc
	v_lshl_or_b32 v2, v2, 9, v4
	v_cmp_eq_u32_e32 vcc, s12, v8
	s_nop 1
	v_cndmask_b32_e32 v2, v5, v2, vcc
	s_waitcnt lgkmcnt(0)
	v_lshrrev_b32_e32 v5, 16, v9
	v_and_or_b32 v2, v3, s13, v2
	v_bitop3_b32 v3, v7, s14, v6 bitop3:0xc8
	s_waitcnt vmcnt(3)
	v_mul_f16_sdwa v6, v5, v16 dst_sel:DWORD dst_unused:UNUSED_PAD src0_sel:DWORD src1_sel:WORD_1
	v_fma_f16 v6, v9, v16, v6
	v_cvt_f32_f16_e32 v6, v6
	v_lshl_or_b32 v2, v2, 16, v3
	global_store_dword v[0:1], v2, off
	v_lshl_add_u64 v[0:1], v[0:1], 0, s[2:3]
	v_cvt_f64_f32_e32 v[2:3], v6
	v_mul_f64 v[2:3], v[2:3], s[6:7]
	v_and_or_b32 v2, v3, s10, v2
	v_cmp_ne_u32_e32 vcc, 0, v2
	v_lshrrev_b32_e32 v6, 8, v3
	v_bfe_u32 v7, v3, 20, 11
	v_cndmask_b32_e64 v2, 0, 1, vcc
	v_and_or_b32 v2, v6, s11, v2
	v_sub_u32_e32 v8, 0x3f1, v7
	v_or_b32_e32 v6, 0x1000, v2
	v_med3_i32 v8, v8, 0, 13
	v_lshrrev_b32_e32 v10, v8, v6
	v_lshlrev_b32_e32 v8, v8, v10
	v_cmp_ne_u32_e32 vcc, v8, v6
	v_add_u32_e32 v7, 0xfffffc10, v7
	v_lshl_or_b32 v8, v7, 12, v2
	v_cndmask_b32_e64 v6, 0, 1, vcc
	v_or_b32_e32 v6, v10, v6
	v_cmp_gt_i32_e32 vcc, 1, v7
	s_nop 1
	v_cndmask_b32_e32 v6, v8, v6, vcc
	v_and_b32_e32 v8, 7, v6
	v_cmp_lt_i32_e32 vcc, 5, v8
	v_cmp_eq_u32_e64 s[0:1], 3, v8
	v_lshrrev_b32_e32 v6, 2, v6
	s_or_b64 vcc, s[0:1], vcc
	v_mul_f16_sdwa v8, v9, v16 dst_sel:DWORD dst_unused:UNUSED_PAD src0_sel:DWORD src1_sel:WORD_1
	v_addc_co_u32_e32 v6, vcc, 0, v6, vcc
	v_fma_f16 v5, v16, v5, -v8
	v_cmp_gt_i32_e32 vcc, 31, v7
	v_cvt_f32_f16_e32 v5, v5
	s_nop 0
	v_cndmask_b32_e32 v6, v4, v6, vcc
	v_cmp_ne_u32_e32 vcc, 0, v2
	s_nop 1
	v_cndmask_b32_e64 v2, 0, 1, vcc
	v_lshl_or_b32 v2, v2, 9, v4
	v_cmp_eq_u32_e32 vcc, s12, v7
	v_and_b32_sdwa v7, v3, s13 dst_sel:DWORD dst_unused:UNUSED_PAD src0_sel:WORD_1 src1_sel:DWORD
	s_nop 0
	v_cndmask_b32_e32 v6, v6, v2, vcc
	v_cvt_f64_f32_e32 v[2:3], v5
	v_mul_f64 v[2:3], v[2:3], s[6:7]
	v_and_or_b32 v2, v3, s10, v2
	v_cmp_ne_u32_e32 vcc, 0, v2
	v_lshrrev_b32_e32 v5, 8, v3
	v_bfe_u32 v8, v3, 20, 11
	v_cndmask_b32_e64 v2, 0, 1, vcc
	v_and_or_b32 v2, v5, s11, v2
	v_sub_u32_e32 v9, 0x3f1, v8
	v_or_b32_e32 v5, 0x1000, v2
	v_med3_i32 v9, v9, 0, 13
	v_lshrrev_b32_e32 v10, v9, v5
	v_lshlrev_b32_e32 v9, v9, v10
	v_cmp_ne_u32_e32 vcc, v9, v5
	v_add_u32_e32 v8, 0xfffffc10, v8
	v_lshl_or_b32 v9, v8, 12, v2
	v_cndmask_b32_e64 v5, 0, 1, vcc
	v_or_b32_e32 v5, v10, v5
	v_cmp_gt_i32_e32 vcc, 1, v8
	v_lshrrev_b32_e32 v3, 16, v3
	s_nop 0
	v_cndmask_b32_e32 v5, v9, v5, vcc
	v_and_b32_e32 v9, 7, v5
	v_cmp_lt_i32_e32 vcc, 5, v9
	v_cmp_eq_u32_e64 s[0:1], 3, v9
	v_lshrrev_b32_e32 v5, 2, v5
	s_or_b64 vcc, s[0:1], vcc
	v_addc_co_u32_e32 v5, vcc, 0, v5, vcc
	v_cmp_gt_i32_e32 vcc, 31, v8
	s_nop 1
	v_cndmask_b32_e32 v5, v4, v5, vcc
	v_cmp_ne_u32_e32 vcc, 0, v2
	s_nop 1
	v_cndmask_b32_e64 v2, 0, 1, vcc
	v_lshl_or_b32 v2, v2, 9, v4
	v_cmp_eq_u32_e32 vcc, s12, v8
	s_nop 1
	v_cndmask_b32_e32 v2, v5, v2, vcc
	v_and_or_b32 v2, v3, s13, v2
	v_bitop3_b32 v3, v7, s14, v6 bitop3:0xc8
	v_lshl_or_b32 v2, v2, 16, v3
	global_store_dword v[0:1], v2, off
.LBB0_15:
	s_endpgm
	.section	.rodata,"a",@progbits
	.p2align	6, 0x0
	.amdhsa_kernel bluestein_single_back_len80_dim1_half_op_CI_CI
		.amdhsa_group_segment_fixed_size 1920
		.amdhsa_private_segment_fixed_size 0
		.amdhsa_kernarg_size 104
		.amdhsa_user_sgpr_count 2
		.amdhsa_user_sgpr_dispatch_ptr 0
		.amdhsa_user_sgpr_queue_ptr 0
		.amdhsa_user_sgpr_kernarg_segment_ptr 1
		.amdhsa_user_sgpr_dispatch_id 0
		.amdhsa_user_sgpr_kernarg_preload_length 0
		.amdhsa_user_sgpr_kernarg_preload_offset 0
		.amdhsa_user_sgpr_private_segment_size 0
		.amdhsa_uses_dynamic_stack 0
		.amdhsa_enable_private_segment 0
		.amdhsa_system_sgpr_workgroup_id_x 1
		.amdhsa_system_sgpr_workgroup_id_y 0
		.amdhsa_system_sgpr_workgroup_id_z 0
		.amdhsa_system_sgpr_workgroup_info 0
		.amdhsa_system_vgpr_workitem_id 0
		.amdhsa_next_free_vgpr 68
		.amdhsa_next_free_sgpr 16
		.amdhsa_accum_offset 68
		.amdhsa_reserve_vcc 1
		.amdhsa_float_round_mode_32 0
		.amdhsa_float_round_mode_16_64 0
		.amdhsa_float_denorm_mode_32 3
		.amdhsa_float_denorm_mode_16_64 3
		.amdhsa_dx10_clamp 1
		.amdhsa_ieee_mode 1
		.amdhsa_fp16_overflow 0
		.amdhsa_tg_split 0
		.amdhsa_exception_fp_ieee_invalid_op 0
		.amdhsa_exception_fp_denorm_src 0
		.amdhsa_exception_fp_ieee_div_zero 0
		.amdhsa_exception_fp_ieee_overflow 0
		.amdhsa_exception_fp_ieee_underflow 0
		.amdhsa_exception_fp_ieee_inexact 0
		.amdhsa_exception_int_div_zero 0
	.end_amdhsa_kernel
	.text
.Lfunc_end0:
	.size	bluestein_single_back_len80_dim1_half_op_CI_CI, .Lfunc_end0-bluestein_single_back_len80_dim1_half_op_CI_CI
                                        ; -- End function
	.section	.AMDGPU.csdata,"",@progbits
; Kernel info:
; codeLenInByte = 12220
; NumSgprs: 22
; NumVgprs: 68
; NumAgprs: 0
; TotalNumVgprs: 68
; ScratchSize: 0
; MemoryBound: 0
; FloatMode: 240
; IeeeMode: 1
; LDSByteSize: 1920 bytes/workgroup (compile time only)
; SGPRBlocks: 2
; VGPRBlocks: 8
; NumSGPRsForWavesPerEU: 22
; NumVGPRsForWavesPerEU: 68
; AccumOffset: 68
; Occupancy: 7
; WaveLimiterHint : 1
; COMPUTE_PGM_RSRC2:SCRATCH_EN: 0
; COMPUTE_PGM_RSRC2:USER_SGPR: 2
; COMPUTE_PGM_RSRC2:TRAP_HANDLER: 0
; COMPUTE_PGM_RSRC2:TGID_X_EN: 1
; COMPUTE_PGM_RSRC2:TGID_Y_EN: 0
; COMPUTE_PGM_RSRC2:TGID_Z_EN: 0
; COMPUTE_PGM_RSRC2:TIDIG_COMP_CNT: 0
; COMPUTE_PGM_RSRC3_GFX90A:ACCUM_OFFSET: 16
; COMPUTE_PGM_RSRC3_GFX90A:TG_SPLIT: 0
	.text
	.p2alignl 6, 3212836864
	.fill 256, 4, 3212836864
	.type	__hip_cuid_88d7fc8c6ce54028,@object ; @__hip_cuid_88d7fc8c6ce54028
	.section	.bss,"aw",@nobits
	.globl	__hip_cuid_88d7fc8c6ce54028
__hip_cuid_88d7fc8c6ce54028:
	.byte	0                               ; 0x0
	.size	__hip_cuid_88d7fc8c6ce54028, 1

	.ident	"AMD clang version 19.0.0git (https://github.com/RadeonOpenCompute/llvm-project roc-6.4.0 25133 c7fe45cf4b819c5991fe208aaa96edf142730f1d)"
	.section	".note.GNU-stack","",@progbits
	.addrsig
	.addrsig_sym __hip_cuid_88d7fc8c6ce54028
	.amdgpu_metadata
---
amdhsa.kernels:
  - .agpr_count:     0
    .args:
      - .actual_access:  read_only
        .address_space:  global
        .offset:         0
        .size:           8
        .value_kind:     global_buffer
      - .actual_access:  read_only
        .address_space:  global
        .offset:         8
        .size:           8
        .value_kind:     global_buffer
      - .actual_access:  read_only
        .address_space:  global
        .offset:         16
        .size:           8
        .value_kind:     global_buffer
      - .actual_access:  read_only
        .address_space:  global
        .offset:         24
        .size:           8
        .value_kind:     global_buffer
      - .actual_access:  read_only
        .address_space:  global
        .offset:         32
        .size:           8
        .value_kind:     global_buffer
      - .offset:         40
        .size:           8
        .value_kind:     by_value
      - .address_space:  global
        .offset:         48
        .size:           8
        .value_kind:     global_buffer
      - .address_space:  global
        .offset:         56
        .size:           8
        .value_kind:     global_buffer
      - .address_space:  global
        .offset:         64
        .size:           8
        .value_kind:     global_buffer
      - .address_space:  global
        .offset:         72
        .size:           8
        .value_kind:     global_buffer
      - .offset:         80
        .size:           4
        .value_kind:     by_value
      - .address_space:  global
        .offset:         88
        .size:           8
        .value_kind:     global_buffer
      - .address_space:  global
        .offset:         96
        .size:           8
        .value_kind:     global_buffer
    .group_segment_fixed_size: 1920
    .kernarg_segment_align: 8
    .kernarg_segment_size: 104
    .language:       OpenCL C
    .language_version:
      - 2
      - 0
    .max_flat_workgroup_size: 60
    .name:           bluestein_single_back_len80_dim1_half_op_CI_CI
    .private_segment_fixed_size: 0
    .sgpr_count:     22
    .sgpr_spill_count: 0
    .symbol:         bluestein_single_back_len80_dim1_half_op_CI_CI.kd
    .uniform_work_group_size: 1
    .uses_dynamic_stack: false
    .vgpr_count:     68
    .vgpr_spill_count: 0
    .wavefront_size: 64
amdhsa.target:   amdgcn-amd-amdhsa--gfx950
amdhsa.version:
  - 1
  - 2
...

	.end_amdgpu_metadata
